;; amdgpu-corpus repo=ROCm/rocFFT kind=compiled arch=gfx1201 opt=O3
	.text
	.amdgcn_target "amdgcn-amd-amdhsa--gfx1201"
	.amdhsa_code_object_version 6
	.protected	fft_rtc_back_len170_factors_17_10_wgs_119_tpt_17_halfLds_dp_ip_CI_unitstride_sbrr_R2C_dirReg ; -- Begin function fft_rtc_back_len170_factors_17_10_wgs_119_tpt_17_halfLds_dp_ip_CI_unitstride_sbrr_R2C_dirReg
	.globl	fft_rtc_back_len170_factors_17_10_wgs_119_tpt_17_halfLds_dp_ip_CI_unitstride_sbrr_R2C_dirReg
	.p2align	8
	.type	fft_rtc_back_len170_factors_17_10_wgs_119_tpt_17_halfLds_dp_ip_CI_unitstride_sbrr_R2C_dirReg,@function
fft_rtc_back_len170_factors_17_10_wgs_119_tpt_17_halfLds_dp_ip_CI_unitstride_sbrr_R2C_dirReg: ; @fft_rtc_back_len170_factors_17_10_wgs_119_tpt_17_halfLds_dp_ip_CI_unitstride_sbrr_R2C_dirReg
; %bb.0:
	s_load_b128 s[4:7], s[0:1], 0x0
	v_mul_u32_u24_e32 v1, 0xf10, v0
	s_clause 0x1
	s_load_b64 s[8:9], s[0:1], 0x50
	s_load_b64 s[10:11], s[0:1], 0x18
	v_mov_b32_e32 v5, 0
	v_lshrrev_b32_e32 v1, 16, v1
	s_delay_alu instid0(VALU_DEP_1) | instskip(SKIP_3) | instid1(VALU_DEP_1)
	v_mad_co_u64_u32 v[1:2], null, ttmp9, 7, v[1:2]
	v_mov_b32_e32 v3, 0
	v_mov_b32_e32 v4, 0
	;; [unrolled: 1-line block ×4, first 2 shown]
	s_wait_kmcnt 0x0
	v_cmp_lt_u64_e64 s2, s[6:7], 2
	v_mov_b32_e32 v9, v1
	s_delay_alu instid0(VALU_DEP_2)
	s_and_b32 vcc_lo, exec_lo, s2
	s_cbranch_vccnz .LBB0_8
; %bb.1:
	s_load_b64 s[2:3], s[0:1], 0x10
	v_dual_mov_b32 v3, 0 :: v_dual_mov_b32 v8, v2
	v_dual_mov_b32 v4, 0 :: v_dual_mov_b32 v7, v1
	s_add_nc_u64 s[12:13], s[10:11], 8
	s_mov_b64 s[14:15], 1
	s_wait_kmcnt 0x0
	s_add_nc_u64 s[16:17], s[2:3], 8
	s_mov_b32 s3, 0
.LBB0_2:                                ; =>This Inner Loop Header: Depth=1
	s_load_b64 s[18:19], s[16:17], 0x0
                                        ; implicit-def: $vgpr9_vgpr10
	s_mov_b32 s2, exec_lo
	s_wait_kmcnt 0x0
	v_or_b32_e32 v6, s19, v8
	s_delay_alu instid0(VALU_DEP_1)
	v_cmpx_ne_u64_e32 0, v[5:6]
	s_wait_alu 0xfffe
	s_xor_b32 s20, exec_lo, s2
	s_cbranch_execz .LBB0_4
; %bb.3:                                ;   in Loop: Header=BB0_2 Depth=1
	s_cvt_f32_u32 s2, s18
	s_cvt_f32_u32 s21, s19
	s_sub_nc_u64 s[24:25], 0, s[18:19]
	s_wait_alu 0xfffe
	s_delay_alu instid0(SALU_CYCLE_1) | instskip(SKIP_1) | instid1(SALU_CYCLE_2)
	s_fmamk_f32 s2, s21, 0x4f800000, s2
	s_wait_alu 0xfffe
	v_s_rcp_f32 s2, s2
	s_delay_alu instid0(TRANS32_DEP_1) | instskip(SKIP_1) | instid1(SALU_CYCLE_2)
	s_mul_f32 s2, s2, 0x5f7ffffc
	s_wait_alu 0xfffe
	s_mul_f32 s21, s2, 0x2f800000
	s_wait_alu 0xfffe
	s_delay_alu instid0(SALU_CYCLE_2) | instskip(SKIP_1) | instid1(SALU_CYCLE_2)
	s_trunc_f32 s21, s21
	s_wait_alu 0xfffe
	s_fmamk_f32 s2, s21, 0xcf800000, s2
	s_cvt_u32_f32 s23, s21
	s_wait_alu 0xfffe
	s_delay_alu instid0(SALU_CYCLE_1) | instskip(SKIP_1) | instid1(SALU_CYCLE_2)
	s_cvt_u32_f32 s22, s2
	s_wait_alu 0xfffe
	s_mul_u64 s[26:27], s[24:25], s[22:23]
	s_wait_alu 0xfffe
	s_mul_hi_u32 s29, s22, s27
	s_mul_i32 s28, s22, s27
	s_mul_hi_u32 s2, s22, s26
	s_mul_i32 s30, s23, s26
	s_wait_alu 0xfffe
	s_add_nc_u64 s[28:29], s[2:3], s[28:29]
	s_mul_hi_u32 s21, s23, s26
	s_mul_hi_u32 s31, s23, s27
	s_add_co_u32 s2, s28, s30
	s_wait_alu 0xfffe
	s_add_co_ci_u32 s2, s29, s21
	s_mul_i32 s26, s23, s27
	s_add_co_ci_u32 s27, s31, 0
	s_wait_alu 0xfffe
	s_add_nc_u64 s[26:27], s[2:3], s[26:27]
	s_wait_alu 0xfffe
	v_add_co_u32 v2, s2, s22, s26
	s_delay_alu instid0(VALU_DEP_1) | instskip(SKIP_1) | instid1(VALU_DEP_1)
	s_cmp_lg_u32 s2, 0
	s_add_co_ci_u32 s23, s23, s27
	v_readfirstlane_b32 s22, v2
	s_wait_alu 0xfffe
	s_delay_alu instid0(VALU_DEP_1)
	s_mul_u64 s[24:25], s[24:25], s[22:23]
	s_wait_alu 0xfffe
	s_mul_hi_u32 s27, s22, s25
	s_mul_i32 s26, s22, s25
	s_mul_hi_u32 s2, s22, s24
	s_mul_i32 s28, s23, s24
	s_wait_alu 0xfffe
	s_add_nc_u64 s[26:27], s[2:3], s[26:27]
	s_mul_hi_u32 s21, s23, s24
	s_mul_hi_u32 s22, s23, s25
	s_wait_alu 0xfffe
	s_add_co_u32 s2, s26, s28
	s_add_co_ci_u32 s2, s27, s21
	s_mul_i32 s24, s23, s25
	s_add_co_ci_u32 s25, s22, 0
	s_wait_alu 0xfffe
	s_add_nc_u64 s[24:25], s[2:3], s[24:25]
	s_wait_alu 0xfffe
	v_add_co_u32 v2, s2, v2, s24
	s_delay_alu instid0(VALU_DEP_1) | instskip(SKIP_1) | instid1(VALU_DEP_1)
	s_cmp_lg_u32 s2, 0
	s_add_co_ci_u32 s2, s23, s25
	v_mul_hi_u32 v6, v7, v2
	s_wait_alu 0xfffe
	v_mad_co_u64_u32 v[9:10], null, v7, s2, 0
	v_mad_co_u64_u32 v[11:12], null, v8, v2, 0
	;; [unrolled: 1-line block ×3, first 2 shown]
	s_delay_alu instid0(VALU_DEP_3) | instskip(SKIP_1) | instid1(VALU_DEP_4)
	v_add_co_u32 v2, vcc_lo, v6, v9
	s_wait_alu 0xfffd
	v_add_co_ci_u32_e32 v6, vcc_lo, 0, v10, vcc_lo
	s_delay_alu instid0(VALU_DEP_2) | instskip(SKIP_1) | instid1(VALU_DEP_2)
	v_add_co_u32 v2, vcc_lo, v2, v11
	s_wait_alu 0xfffd
	v_add_co_ci_u32_e32 v2, vcc_lo, v6, v12, vcc_lo
	s_wait_alu 0xfffd
	v_add_co_ci_u32_e32 v6, vcc_lo, 0, v14, vcc_lo
	s_delay_alu instid0(VALU_DEP_2) | instskip(SKIP_1) | instid1(VALU_DEP_2)
	v_add_co_u32 v2, vcc_lo, v2, v13
	s_wait_alu 0xfffd
	v_add_co_ci_u32_e32 v6, vcc_lo, 0, v6, vcc_lo
	s_delay_alu instid0(VALU_DEP_2) | instskip(SKIP_1) | instid1(VALU_DEP_3)
	v_mul_lo_u32 v11, s19, v2
	v_mad_co_u64_u32 v[9:10], null, s18, v2, 0
	v_mul_lo_u32 v12, s18, v6
	s_delay_alu instid0(VALU_DEP_2) | instskip(NEXT) | instid1(VALU_DEP_2)
	v_sub_co_u32 v9, vcc_lo, v7, v9
	v_add3_u32 v10, v10, v12, v11
	s_delay_alu instid0(VALU_DEP_1) | instskip(SKIP_1) | instid1(VALU_DEP_1)
	v_sub_nc_u32_e32 v11, v8, v10
	s_wait_alu 0xfffd
	v_subrev_co_ci_u32_e64 v11, s2, s19, v11, vcc_lo
	v_add_co_u32 v12, s2, v2, 2
	s_wait_alu 0xf1ff
	v_add_co_ci_u32_e64 v13, s2, 0, v6, s2
	v_sub_co_u32 v14, s2, v9, s18
	v_sub_co_ci_u32_e32 v10, vcc_lo, v8, v10, vcc_lo
	s_wait_alu 0xf1ff
	v_subrev_co_ci_u32_e64 v11, s2, 0, v11, s2
	s_delay_alu instid0(VALU_DEP_3) | instskip(NEXT) | instid1(VALU_DEP_3)
	v_cmp_le_u32_e32 vcc_lo, s18, v14
	v_cmp_eq_u32_e64 s2, s19, v10
	s_wait_alu 0xfffd
	v_cndmask_b32_e64 v14, 0, -1, vcc_lo
	v_cmp_le_u32_e32 vcc_lo, s19, v11
	s_wait_alu 0xfffd
	v_cndmask_b32_e64 v15, 0, -1, vcc_lo
	v_cmp_le_u32_e32 vcc_lo, s18, v9
	;; [unrolled: 3-line block ×3, first 2 shown]
	s_wait_alu 0xfffd
	v_cndmask_b32_e64 v16, 0, -1, vcc_lo
	v_cmp_eq_u32_e32 vcc_lo, s19, v11
	s_wait_alu 0xf1ff
	s_delay_alu instid0(VALU_DEP_2)
	v_cndmask_b32_e64 v9, v16, v9, s2
	s_wait_alu 0xfffd
	v_cndmask_b32_e32 v11, v15, v14, vcc_lo
	v_add_co_u32 v14, vcc_lo, v2, 1
	s_wait_alu 0xfffd
	v_add_co_ci_u32_e32 v15, vcc_lo, 0, v6, vcc_lo
	s_delay_alu instid0(VALU_DEP_3) | instskip(SKIP_1) | instid1(VALU_DEP_2)
	v_cmp_ne_u32_e32 vcc_lo, 0, v11
	s_wait_alu 0xfffd
	v_dual_cndmask_b32 v10, v15, v13 :: v_dual_cndmask_b32 v11, v14, v12
	v_cmp_ne_u32_e32 vcc_lo, 0, v9
	s_wait_alu 0xfffd
	s_delay_alu instid0(VALU_DEP_2) | instskip(NEXT) | instid1(VALU_DEP_3)
	v_cndmask_b32_e32 v10, v6, v10, vcc_lo
	v_cndmask_b32_e32 v9, v2, v11, vcc_lo
.LBB0_4:                                ;   in Loop: Header=BB0_2 Depth=1
	s_wait_alu 0xfffe
	s_and_not1_saveexec_b32 s2, s20
	s_cbranch_execz .LBB0_6
; %bb.5:                                ;   in Loop: Header=BB0_2 Depth=1
	v_cvt_f32_u32_e32 v2, s18
	s_sub_co_i32 s20, 0, s18
	s_delay_alu instid0(VALU_DEP_1) | instskip(NEXT) | instid1(TRANS32_DEP_1)
	v_rcp_iflag_f32_e32 v2, v2
	v_mul_f32_e32 v2, 0x4f7ffffe, v2
	s_delay_alu instid0(VALU_DEP_1) | instskip(SKIP_1) | instid1(VALU_DEP_1)
	v_cvt_u32_f32_e32 v2, v2
	s_wait_alu 0xfffe
	v_mul_lo_u32 v6, s20, v2
	s_delay_alu instid0(VALU_DEP_1) | instskip(NEXT) | instid1(VALU_DEP_1)
	v_mul_hi_u32 v6, v2, v6
	v_add_nc_u32_e32 v2, v2, v6
	s_delay_alu instid0(VALU_DEP_1) | instskip(NEXT) | instid1(VALU_DEP_1)
	v_mul_hi_u32 v2, v7, v2
	v_mul_lo_u32 v6, v2, s18
	v_add_nc_u32_e32 v9, 1, v2
	s_delay_alu instid0(VALU_DEP_2) | instskip(NEXT) | instid1(VALU_DEP_1)
	v_sub_nc_u32_e32 v6, v7, v6
	v_subrev_nc_u32_e32 v10, s18, v6
	v_cmp_le_u32_e32 vcc_lo, s18, v6
	s_wait_alu 0xfffd
	s_delay_alu instid0(VALU_DEP_2) | instskip(SKIP_2) | instid1(VALU_DEP_3)
	v_cndmask_b32_e32 v6, v6, v10, vcc_lo
	v_mov_b32_e32 v10, v5
	v_cndmask_b32_e32 v2, v2, v9, vcc_lo
	v_cmp_le_u32_e32 vcc_lo, s18, v6
	s_delay_alu instid0(VALU_DEP_2) | instskip(SKIP_1) | instid1(VALU_DEP_1)
	v_add_nc_u32_e32 v9, 1, v2
	s_wait_alu 0xfffd
	v_cndmask_b32_e32 v9, v2, v9, vcc_lo
.LBB0_6:                                ;   in Loop: Header=BB0_2 Depth=1
	s_wait_alu 0xfffe
	s_or_b32 exec_lo, exec_lo, s2
	s_load_b64 s[20:21], s[12:13], 0x0
	v_mul_lo_u32 v2, v10, s18
	v_mul_lo_u32 v6, v9, s19
	v_mad_co_u64_u32 v[11:12], null, v9, s18, 0
	s_add_nc_u64 s[14:15], s[14:15], 1
	s_add_nc_u64 s[12:13], s[12:13], 8
	s_wait_alu 0xfffe
	v_cmp_ge_u64_e64 s2, s[14:15], s[6:7]
	s_add_nc_u64 s[16:17], s[16:17], 8
	s_delay_alu instid0(VALU_DEP_2) | instskip(NEXT) | instid1(VALU_DEP_3)
	v_add3_u32 v2, v12, v6, v2
	v_sub_co_u32 v6, vcc_lo, v7, v11
	s_wait_alu 0xfffd
	s_delay_alu instid0(VALU_DEP_2) | instskip(SKIP_3) | instid1(VALU_DEP_2)
	v_sub_co_ci_u32_e32 v2, vcc_lo, v8, v2, vcc_lo
	s_and_b32 vcc_lo, exec_lo, s2
	s_wait_kmcnt 0x0
	v_mul_lo_u32 v7, s21, v6
	v_mul_lo_u32 v2, s20, v2
	v_mad_co_u64_u32 v[3:4], null, s20, v6, v[3:4]
	s_delay_alu instid0(VALU_DEP_1)
	v_add3_u32 v4, v7, v4, v2
	s_wait_alu 0xfffe
	s_cbranch_vccnz .LBB0_8
; %bb.7:                                ;   in Loop: Header=BB0_2 Depth=1
	v_dual_mov_b32 v7, v9 :: v_dual_mov_b32 v8, v10
	s_branch .LBB0_2
.LBB0_8:
	v_mul_hi_u32 v2, 0x24924925, v1
	s_lshl_b64 s[2:3], s[6:7], 3
	s_load_b64 s[0:1], s[0:1], 0x20
	s_add_nc_u64 s[2:3], s[10:11], s[2:3]
	s_load_b64 s[2:3], s[2:3], 0x0
	s_delay_alu instid0(VALU_DEP_1) | instskip(NEXT) | instid1(VALU_DEP_1)
	v_sub_nc_u32_e32 v5, v1, v2
	v_lshrrev_b32_e32 v5, 1, v5
	s_delay_alu instid0(VALU_DEP_1) | instskip(SKIP_3) | instid1(VALU_DEP_3)
	v_add_nc_u32_e32 v2, v5, v2
	v_mul_hi_u32 v5, 0xf0f0f10, v0
	s_wait_kmcnt 0x0
	v_cmp_gt_u64_e32 vcc_lo, s[0:1], v[9:10]
	v_lshrrev_b32_e32 v2, 2, v2
	v_mul_lo_u32 v7, s2, v10
	v_mul_lo_u32 v8, s3, v9
	s_delay_alu instid0(VALU_DEP_3) | instskip(SKIP_2) | instid1(VALU_DEP_1)
	v_mul_lo_u32 v6, v2, 7
	v_mad_co_u64_u32 v[2:3], null, s2, v9, v[3:4]
	v_mul_u32_u24_e32 v4, 17, v5
	v_sub_nc_u32_e32 v68, v0, v4
	s_delay_alu instid0(VALU_DEP_4) | instskip(NEXT) | instid1(VALU_DEP_4)
	v_sub_nc_u32_e32 v1, v1, v6
	v_add3_u32 v3, v8, v3, v7
	s_delay_alu instid0(VALU_DEP_3) | instskip(NEXT) | instid1(VALU_DEP_3)
	v_lshlrev_b32_e32 v107, 4, v68
	v_mul_u32_u24_e32 v1, 0xab, v1
	s_delay_alu instid0(VALU_DEP_3) | instskip(NEXT) | instid1(VALU_DEP_2)
	v_lshlrev_b64_e32 v[70:71], 4, v[2:3]
	v_lshlrev_b32_e32 v109, 4, v1
	s_and_saveexec_b32 s1, vcc_lo
	s_cbranch_execz .LBB0_10
; %bb.9:
	v_mov_b32_e32 v69, 0
	s_delay_alu instid0(VALU_DEP_3) | instskip(SKIP_2) | instid1(VALU_DEP_3)
	v_add_co_u32 v2, s0, s8, v70
	s_wait_alu 0xf1ff
	v_add_co_ci_u32_e64 v3, s0, s9, v71, s0
	v_lshlrev_b64_e32 v[0:1], 4, v[68:69]
	v_add3_u32 v40, 0, v109, v107
	s_delay_alu instid0(VALU_DEP_2) | instskip(SKIP_1) | instid1(VALU_DEP_3)
	v_add_co_u32 v36, s0, v2, v0
	s_wait_alu 0xf1ff
	v_add_co_ci_u32_e64 v37, s0, v3, v1, s0
	s_clause 0x9
	global_load_b128 v[0:3], v[36:37], off
	global_load_b128 v[4:7], v[36:37], off offset:272
	global_load_b128 v[8:11], v[36:37], off offset:544
	;; [unrolled: 1-line block ×9, first 2 shown]
	s_wait_loadcnt 0x9
	ds_store_b128 v40, v[0:3]
	s_wait_loadcnt 0x8
	ds_store_b128 v40, v[4:7] offset:272
	s_wait_loadcnt 0x7
	ds_store_b128 v40, v[8:11] offset:544
	;; [unrolled: 2-line block ×9, first 2 shown]
.LBB0_10:
	s_wait_alu 0xfffe
	s_or_b32 exec_lo, exec_lo, s1
	v_add_nc_u32_e32 v69, 0, v109
	v_add3_u32 v108, 0, v107, v109
	global_wb scope:SCOPE_SE
	s_wait_dscnt 0x0
	s_barrier_signal -1
	s_barrier_wait -1
	v_add_nc_u32_e32 v106, v69, v107
	global_inv scope:SCOPE_SE
	s_mov_b32 s33, exec_lo
	ds_load_b128 v[36:39], v108 offset:320
	ds_load_b128 v[44:47], v108 offset:480
	ds_load_b128 v[8:11], v106
	ds_load_b128 v[40:43], v108 offset:160
	ds_load_b128 v[48:51], v108 offset:640
	;; [unrolled: 1-line block ×14, first 2 shown]
	global_wb scope:SCOPE_SE
	s_wait_dscnt 0x0
	s_barrier_signal -1
	s_barrier_wait -1
	global_inv scope:SCOPE_SE
	v_cmpx_gt_u32_e32 10, v68
	s_cbranch_execz .LBB0_12
; %bb.11:
	v_add_f64_e32 v[72:73], v[10:11], v[42:43]
	v_add_f64_e32 v[74:75], v[8:9], v[40:41]
	v_add_f64_e64 v[78:79], v[56:57], -v[32:33]
	v_add_f64_e64 v[80:81], v[58:59], -v[34:35]
	;; [unrolled: 1-line block ×3, first 2 shown]
	s_mov_b32 s28, 0x7c9e640b
	s_mov_b32 s22, 0x6c9a05f6
	;; [unrolled: 1-line block ×10, first 2 shown]
	s_wait_alu 0xfffe
	s_mov_b32 s46, s18
	s_mov_b32 s40, s28
	v_add_f64_e64 v[84:85], v[64:65], -v[28:29]
	v_add_f64_e32 v[76:77], v[66:67], v[30:31]
	s_mov_b32 s42, 0xeb564b22
	s_mov_b32 s38, 0x923c349f
	;; [unrolled: 1-line block ×19, first 2 shown]
	v_add_f64_e32 v[72:73], v[72:73], v[38:39]
	v_add_f64_e32 v[74:75], v[74:75], v[36:37]
	s_mov_b32 s34, s42
	s_wait_alu 0xfffe
	s_mov_b32 s36, s20
	v_mul_f64_e32 v[120:121], s[46:47], v[104:105]
	s_mov_b32 s44, s38
	v_add_f64_e64 v[88:89], v[60:61], -v[24:25]
	v_add_f64_e32 v[82:83], v[62:63], v[26:27]
	v_add_f64_e64 v[98:99], v[44:45], -v[12:13]
	v_add_f64_e32 v[96:97], v[46:47], v[14:15]
	v_mul_f64_e32 v[114:115], s[38:39], v[104:105]
	v_mul_f64_e32 v[116:117], s[34:35], v[104:105]
	;; [unrolled: 1-line block ×3, first 2 shown]
	s_mov_b32 s26, 0x3259b75e
	s_mov_b32 s30, 0xc61f0d01
	;; [unrolled: 1-line block ×12, first 2 shown]
	v_add_f64_e64 v[92:93], v[52:53], -v[20:21]
	v_add_f64_e32 v[86:87], v[54:55], v[22:23]
	v_add_f64_e64 v[94:95], v[48:49], -v[16:17]
	v_add_f64_e32 v[90:91], v[50:51], v[18:19]
	s_mov_b32 s51, 0x3fe9895b
	s_mov_b32 s50, s22
	v_add_f64_e32 v[72:73], v[72:73], v[46:47]
	v_add_f64_e32 v[74:75], v[74:75], v[44:45]
	v_add_f64_e64 v[46:47], v[46:47], -v[14:15]
	v_add_f64_e32 v[44:45], v[44:45], v[12:13]
	v_mul_f64_e32 v[140:141], s[24:25], v[98:99]
	v_mul_f64_e32 v[148:149], s[34:35], v[98:99]
	;; [unrolled: 1-line block ×7, first 2 shown]
	v_add_f64_e32 v[72:73], v[72:73], v[50:51]
	v_add_f64_e32 v[74:75], v[74:75], v[48:49]
	v_add_f64_e64 v[50:51], v[50:51], -v[18:19]
	v_mul_f64_e32 v[150:151], s[34:35], v[46:47]
	v_mul_f64_e32 v[154:155], s[36:37], v[46:47]
	v_add_f64_e32 v[48:49], v[48:49], v[16:17]
	v_mul_f64_e32 v[142:143], s[24:25], v[46:47]
	v_mul_f64_e32 v[162:163], s[18:19], v[46:47]
	;; [unrolled: 1-line block ×6, first 2 shown]
	v_fma_f64 v[218:219], v[96:97], s[2:3], v[140:141]
	v_fma_f64 v[140:141], v[96:97], s[2:3], -v[140:141]
	s_wait_alu 0xfffe
	v_fma_f64 v[224:225], v[96:97], s[26:27], v[148:149]
	v_fma_f64 v[148:149], v[96:97], s[26:27], -v[148:149]
	v_fma_f64 v[232:233], v[96:97], s[10:11], -v[160:161]
	;; [unrolled: 1-line block ×5, first 2 shown]
	v_fma_f64 v[160:161], v[96:97], s[10:11], v[160:161]
	v_fma_f64 v[168:169], v[96:97], s[30:31], v[168:169]
	;; [unrolled: 1-line block ×4, first 2 shown]
	v_add_f64_e32 v[72:73], v[72:73], v[54:55]
	v_add_f64_e32 v[74:75], v[74:75], v[52:53]
	;; [unrolled: 1-line block ×3, first 2 shown]
	v_add_f64_e64 v[54:55], v[54:55], -v[22:23]
	v_fma_f64 v[254:255], v[44:45], s[26:27], -v[150:151]
	v_fma_f64 v[150:151], v[44:45], s[26:27], v[150:151]
	v_add_f64_e32 v[72:73], v[72:73], v[62:63]
	v_add_f64_e32 v[74:75], v[74:75], v[60:61]
	;; [unrolled: 1-line block ×3, first 2 shown]
	v_add_f64_e64 v[62:63], v[62:63], -v[26:27]
	s_delay_alu instid0(VALU_DEP_4) | instskip(NEXT) | instid1(VALU_DEP_4)
	v_add_f64_e32 v[100:101], v[72:73], v[66:67]
	v_add_f64_e32 v[102:103], v[74:75], v[64:65]
	;; [unrolled: 1-line block ×5, first 2 shown]
	v_add_f64_e64 v[66:67], v[66:67], -v[30:31]
	v_add_f64_e32 v[110:111], v[100:101], v[58:59]
	v_add_f64_e32 v[112:113], v[102:103], v[56:57]
	;; [unrolled: 1-line block ×3, first 2 shown]
	v_add_f64_e64 v[102:103], v[38:39], -v[6:7]
	v_add_f64_e32 v[38:39], v[40:41], v[0:1]
	v_add_f64_e64 v[40:41], v[42:43], -v[2:3]
	v_add_f64_e64 v[100:101], v[36:37], -v[4:5]
	v_add_f64_e32 v[58:59], v[42:43], v[2:3]
	v_add_f64_e32 v[36:37], v[36:37], v[4:5]
	v_mul_f64_e32 v[42:43], s[14:15], v[104:105]
	v_add_f64_e32 v[34:35], v[110:111], v[34:35]
	v_add_f64_e32 v[32:33], v[112:113], v[32:33]
	v_mul_f64_e32 v[110:111], s[24:25], v[104:105]
	v_mul_f64_e32 v[112:113], s[22:23], v[104:105]
	v_mul_f64_e32 v[104:105], s[36:37], v[104:105]
	v_mul_f64_e32 v[124:125], s[24:25], v[40:41]
	v_mul_f64_e32 v[126:127], s[22:23], v[40:41]
	v_mul_f64_e32 v[132:133], s[40:41], v[40:41]
	v_mul_f64_e32 v[122:123], s[14:15], v[40:41]
	v_mul_f64_e32 v[128:129], s[38:39], v[40:41]
	v_mul_f64_e32 v[130:131], s[34:35], v[40:41]
	v_mul_f64_e32 v[134:135], s[46:47], v[40:41]
	v_mul_f64_e32 v[40:41], s[36:37], v[40:41]
	v_mul_f64_e32 v[144:145], s[28:29], v[100:101]
	v_mul_f64_e32 v[146:147], s[28:29], v[102:103]
	v_mul_f64_e32 v[152:153], s[44:45], v[100:101]
	v_mul_f64_e32 v[172:173], s[22:23], v[102:103]
	v_mul_f64_e32 v[176:177], s[34:35], v[100:101]
	v_mul_f64_e32 v[136:137], s[20:21], v[100:101]
	v_mul_f64_e32 v[138:139], s[20:21], v[102:103]
	v_mul_f64_e32 v[156:157], s[48:49], v[100:101]
	v_mul_f64_e32 v[158:159], s[48:49], v[102:103]
	v_mul_f64_e32 v[164:165], s[14:15], v[100:101]
	v_mul_f64_e32 v[166:167], s[14:15], v[102:103]
	v_mul_f64_e32 v[170:171], s[22:23], v[100:101]
	v_mul_f64_e32 v[178:179], s[34:35], v[102:103]
	v_mul_f64_e32 v[100:101], s[46:47], v[100:101]
	v_fma_f64 v[190:191], v[58:59], s[0:1], v[42:43]
	v_fma_f64 v[42:43], v[58:59], s[0:1], -v[42:43]
	v_fma_f64 v[196:197], v[58:59], s[30:31], v[114:115]
	v_fma_f64 v[114:115], v[58:59], s[30:31], -v[114:115]
	;; [unrolled: 2-line block ×4, first 2 shown]
	v_add_f64_e32 v[30:31], v[34:35], v[30:31]
	v_add_f64_e32 v[28:29], v[32:33], v[28:29]
	v_mul_f64_e32 v[32:33], s[44:45], v[102:103]
	v_fma_f64 v[192:193], v[58:59], s[2:3], v[110:111]
	v_fma_f64 v[110:111], v[58:59], s[2:3], -v[110:111]
	v_fma_f64 v[194:195], v[58:59], s[12:13], v[112:113]
	v_fma_f64 v[202:203], v[38:39], s[2:3], -v[124:125]
	;; [unrolled: 2-line block ×3, first 2 shown]
	v_fma_f64 v[210:211], v[38:39], s[16:17], -v[132:133]
	v_fma_f64 v[132:133], v[38:39], s[16:17], v[132:133]
	v_mul_f64_e32 v[34:35], s[36:37], v[98:99]
	v_mul_f64_e32 v[98:99], s[40:41], v[98:99]
	;; [unrolled: 1-line block ×3, first 2 shown]
	v_fma_f64 v[112:113], v[58:59], s[12:13], -v[112:113]
	v_fma_f64 v[126:127], v[38:39], s[12:13], v[126:127]
	v_fma_f64 v[206:207], v[38:39], s[30:31], -v[128:129]
	v_fma_f64 v[128:129], v[38:39], s[30:31], v[128:129]
	;; [unrolled: 2-line block ×5, first 2 shown]
	v_fma_f64 v[222:223], v[36:37], s[16:17], -v[146:147]
	v_fma_f64 v[144:145], v[56:57], s[16:17], -v[144:145]
	v_fma_f64 v[146:147], v[36:37], s[16:17], v[146:147]
	v_fma_f64 v[226:227], v[56:57], s[30:31], v[152:153]
	;; [unrolled: 1-line block ×3, first 2 shown]
	v_fma_f64 v[246:247], v[56:57], s[26:27], -v[176:177]
	v_fma_f64 v[216:217], v[36:37], s[6:7], -v[138:139]
	;; [unrolled: 1-line block ×6, first 2 shown]
	v_fma_f64 v[164:165], v[56:57], s[0:1], v[164:165]
	v_fma_f64 v[170:171], v[56:57], s[12:13], v[170:171]
	;; [unrolled: 1-line block ×3, first 2 shown]
	v_add_f64_e32 v[26:27], v[30:31], v[26:27]
	v_add_f64_e32 v[24:25], v[28:29], v[24:25]
	v_fma_f64 v[30:31], v[58:59], s[10:11], -v[120:121]
	v_fma_f64 v[28:29], v[58:59], s[10:11], v[120:121]
	v_fma_f64 v[120:121], v[58:59], s[6:7], v[104:105]
	v_fma_f64 v[58:59], v[58:59], s[6:7], -v[104:105]
	v_fma_f64 v[104:105], v[38:39], s[0:1], -v[122:123]
	v_fma_f64 v[122:123], v[38:39], s[0:1], v[122:123]
	v_fma_f64 v[38:39], v[38:39], s[6:7], v[40:41]
	v_fma_f64 v[228:229], v[36:37], s[30:31], -v[32:33]
	v_add_f64_e32 v[192:193], v[10:11], v[192:193]
	v_add_f64_e32 v[202:203], v[8:9], v[202:203]
	;; [unrolled: 1-line block ×7, first 2 shown]
	v_fma_f64 v[40:41], v[56:57], s[6:7], v[136:137]
	v_fma_f64 v[136:137], v[56:57], s[6:7], -v[136:137]
	v_fma_f64 v[230:231], v[96:97], s[6:7], v[34:35]
	v_add_f64_e32 v[190:191], v[10:11], v[190:191]
	v_add_f64_e32 v[42:43], v[10:11], v[42:43]
	;; [unrolled: 1-line block ×21, first 2 shown]
	v_fma_f64 v[24:25], v[36:37], s[30:31], v[32:33]
	v_fma_f64 v[26:27], v[96:97], s[6:7], -v[34:35]
	v_fma_f64 v[32:33], v[56:57], s[2:3], -v[156:157]
	v_fma_f64 v[34:35], v[36:37], s[2:3], v[158:159]
	v_fma_f64 v[156:157], v[56:57], s[2:3], v[156:157]
	;; [unrolled: 1-line block ×3, first 2 shown]
	v_fma_f64 v[100:101], v[96:97], s[16:17], -v[98:99]
	v_fma_f64 v[96:97], v[96:97], s[16:17], v[98:99]
	v_fma_f64 v[98:99], v[36:37], s[10:11], v[102:103]
	v_add_f64_e32 v[104:105], v[8:9], v[104:105]
	v_add_f64_e32 v[122:123], v[8:9], v[122:123]
	v_add_f64_e32 v[28:29], v[10:11], v[28:29]
	v_add_f64_e32 v[120:121], v[10:11], v[120:121]
	v_add_f64_e32 v[10:11], v[10:11], v[58:59]
	v_add_f64_e32 v[8:9], v[8:9], v[38:39]
	v_add_f64_e32 v[192:193], v[220:221], v[192:193]
	v_add_f64_e32 v[202:203], v[222:223], v[202:203]
	v_add_f64_e32 v[110:111], v[144:145], v[110:111]
	v_add_f64_e32 v[124:125], v[146:147], v[124:125]
	v_add_f64_e32 v[194:195], v[226:227], v[194:195]
	v_mul_f64_e32 v[226:227], s[50:51], v[94:95]
	v_add_f64_e32 v[204:205], v[228:229], v[204:205]
	v_mul_f64_e32 v[228:229], s[50:51], v[50:51]
	v_add_f64_e32 v[132:133], v[242:243], v[132:133]
	v_mul_f64_e32 v[242:243], s[24:25], v[94:95]
	v_fma_f64 v[138:139], v[36:37], s[6:7], v[138:139]
	v_fma_f64 v[236:237], v[36:37], s[0:1], v[166:167]
	;; [unrolled: 1-line block ×3, first 2 shown]
	v_fma_f64 v[158:159], v[36:37], s[2:3], -v[158:159]
	v_fma_f64 v[166:167], v[36:37], s[0:1], -v[166:167]
	;; [unrolled: 1-line block ×6, first 2 shown]
	v_fma_f64 v[142:143], v[44:45], s[2:3], v[142:143]
	v_add_f64_e32 v[18:19], v[22:23], v[18:19]
	v_add_f64_e32 v[16:17], v[20:21], v[16:17]
	v_fma_f64 v[20:21], v[44:45], s[6:7], -v[154:155]
	v_add_f64_e32 v[30:31], v[246:247], v[30:31]
	v_mul_f64_e32 v[246:247], s[24:25], v[50:51]
	v_fma_f64 v[22:23], v[44:45], s[6:7], v[154:155]
	v_fma_f64 v[154:155], v[44:45], s[10:11], v[162:163]
	v_fma_f64 v[162:163], v[44:45], s[10:11], -v[162:163]
	v_fma_f64 v[38:39], v[44:45], s[30:31], v[182:183]
	v_fma_f64 v[58:59], v[44:45], s[30:31], -v[182:183]
	;; [unrolled: 2-line block ×3, first 2 shown]
	v_add_f64_e32 v[40:41], v[40:41], v[190:191]
	v_add_f64_e32 v[104:105], v[216:217], v[104:105]
	;; [unrolled: 1-line block ×4, first 2 shown]
	v_mul_f64_e32 v[152:153], s[36:37], v[92:93]
	v_add_f64_e32 v[24:25], v[24:25], v[126:127]
	v_mul_f64_e32 v[126:127], s[36:37], v[54:55]
	v_add_f64_e32 v[34:35], v[34:35], v[128:129]
	v_add_f64_e32 v[118:119], v[240:241], v[118:119]
	;; [unrolled: 1-line block ×3, first 2 shown]
	v_mul_f64_e32 v[252:253], s[42:43], v[92:93]
	v_add_f64_e32 v[8:9], v[98:99], v[8:9]
	v_mul_f64_e32 v[98:99], s[42:43], v[54:55]
	v_add_f64_e32 v[164:165], v[164:165], v[198:199]
	;; [unrolled: 2-line block ×3, first 2 shown]
	v_fma_f64 v[224:225], v[90:91], s[12:13], v[226:227]
	v_add_f64_e32 v[202:203], v[254:255], v[202:203]
	v_fma_f64 v[254:255], v[48:49], s[12:13], -v[228:229]
	v_add_f64_e32 v[110:111], v[148:149], v[110:111]
	v_fma_f64 v[226:227], v[90:91], s[12:13], -v[226:227]
	v_add_f64_e32 v[124:125], v[150:151], v[124:125]
	v_fma_f64 v[228:229], v[48:49], s[12:13], v[228:229]
	v_add_f64_e32 v[194:195], v[230:231], v[194:195]
	v_fma_f64 v[230:231], v[90:91], s[2:3], v[242:243]
	v_add_f64_e32 v[122:123], v[138:139], v[122:123]
	v_add_f64_e32 v[14:15], v[18:19], v[14:15]
	;; [unrolled: 1-line block ×3, first 2 shown]
	v_fma_f64 v[16:17], v[44:45], s[12:13], v[186:187]
	v_fma_f64 v[18:19], v[44:45], s[12:13], -v[186:187]
	v_fma_f64 v[186:187], v[44:45], s[16:17], v[46:47]
	v_fma_f64 v[44:45], v[44:45], s[16:17], -v[46:47]
	v_mul_f64_e32 v[46:47], s[18:19], v[50:51]
	v_add_f64_e32 v[20:21], v[20:21], v[204:205]
	v_fma_f64 v[204:205], v[48:49], s[2:3], -v[246:247]
	v_mul_f64_e32 v[190:191], s[22:23], v[92:93]
	v_mul_f64_e32 v[216:217], s[22:23], v[54:55]
	;; [unrolled: 1-line block ×3, first 2 shown]
	v_add_f64_e32 v[130:131], v[236:237], v[130:131]
	v_add_f64_e32 v[156:157], v[156:157], v[196:197]
	v_mul_f64_e32 v[196:197], s[46:47], v[88:89]
	v_add_f64_e32 v[166:167], v[166:167], v[208:209]
	v_mul_f64_e32 v[208:209], s[46:47], v[62:63]
	v_add_f64_e32 v[40:41], v[218:219], v[40:41]
	v_fma_f64 v[218:219], v[90:91], s[10:11], v[188:189]
	v_add_f64_e32 v[102:103], v[102:103], v[104:105]
	v_add_f64_e32 v[42:43], v[140:141], v[42:43]
	v_fma_f64 v[188:189], v[90:91], s[10:11], -v[188:189]
	v_add_f64_e32 v[178:179], v[178:179], v[212:213]
	v_mul_f64_e32 v[212:213], s[14:15], v[54:55]
	v_add_f64_e32 v[26:27], v[26:27], v[112:113]
	v_fma_f64 v[242:243], v[90:91], s[2:3], -v[242:243]
	v_add_f64_e32 v[22:23], v[22:23], v[24:25]
	v_fma_f64 v[246:247], v[48:49], s[2:3], v[246:247]
	v_add_f64_e32 v[34:35], v[154:155], v[34:35]
	v_fma_f64 v[154:155], v[48:49], s[16:17], v[198:199]
	;; [unrolled: 2-line block ×3, first 2 shown]
	v_add_f64_e32 v[192:193], v[224:225], v[192:193]
	v_fma_f64 v[224:225], v[52:53], s[6:7], -v[126:127]
	v_add_f64_e32 v[202:203], v[254:255], v[202:203]
	v_add_f64_e32 v[110:111], v[226:227], v[110:111]
	v_fma_f64 v[152:153], v[86:87], s[6:7], -v[152:153]
	v_add_f64_e32 v[124:125], v[228:229], v[124:125]
	v_fma_f64 v[126:127], v[52:53], s[6:7], v[126:127]
	v_add_f64_e32 v[194:195], v[230:231], v[194:195]
	v_fma_f64 v[230:231], v[86:87], s[26:27], v[252:253]
	v_add_f64_e32 v[122:123], v[142:143], v[122:123]
	v_add_f64_e32 v[32:33], v[32:33], v[114:115]
	v_add_f64_e32 v[116:117], v[234:235], v[116:117]
	v_fma_f64 v[104:105], v[48:49], s[10:11], -v[46:47]
	v_fma_f64 v[46:47], v[48:49], s[10:11], v[46:47]
	v_add_f64_e32 v[20:21], v[204:205], v[20:21]
	v_fma_f64 v[204:205], v[52:53], s[26:27], -v[98:99]
	v_add_f64_e32 v[158:159], v[158:159], v[206:207]
	v_mul_f64_e32 v[206:207], s[40:41], v[94:95]
	v_add_f64_e32 v[36:37], v[36:37], v[214:215]
	v_mul_f64_e32 v[214:215], s[42:43], v[62:63]
	v_mul_f64_e32 v[112:113], s[20:21], v[94:95]
	;; [unrolled: 1-line block ×3, first 2 shown]
	v_add_f64_e32 v[38:39], v[38:39], v[130:131]
	v_mul_f64_e32 v[130:131], s[44:45], v[94:95]
	v_add_f64_e32 v[40:41], v[218:219], v[40:41]
	v_fma_f64 v[218:219], v[86:87], s[12:13], v[190:191]
	v_fma_f64 v[190:191], v[86:87], s[12:13], -v[190:191]
	v_add_f64_e32 v[42:43], v[188:189], v[42:43]
	v_mul_f64_e32 v[254:255], s[44:45], v[50:51]
	v_fma_f64 v[252:253], v[86:87], s[26:27], -v[252:253]
	v_add_f64_e32 v[132:133], v[182:183], v[132:133]
	v_add_f64_e32 v[26:27], v[242:243], v[26:27]
	v_mul_f64_e32 v[242:243], s[14:15], v[94:95]
	v_add_f64_e32 v[22:23], v[246:247], v[22:23]
	v_mul_f64_e32 v[246:247], s[14:15], v[50:51]
	v_add_f64_e32 v[34:35], v[154:155], v[34:35]
	v_fma_f64 v[154:155], v[52:53], s[0:1], v[212:213]
	v_mul_f64_e32 v[94:95], s[34:35], v[94:95]
	v_mul_f64_e32 v[50:51], s[34:35], v[50:51]
	v_fma_f64 v[182:183], v[60:61], s[10:11], -v[208:209]
	v_add_f64_e32 v[202:203], v[224:225], v[202:203]
	v_fma_f64 v[224:225], v[60:61], s[0:1], -v[128:129]
	v_fma_f64 v[128:129], v[60:61], s[0:1], v[128:129]
	v_add_f64_e32 v[110:111], v[152:153], v[110:111]
	v_fma_f64 v[152:153], v[82:83], s[10:11], v[196:197]
	v_add_f64_e32 v[124:125], v[126:127], v[124:125]
	v_add_f64_e32 v[194:195], v[230:231], v[194:195]
	v_mul_f64_e32 v[136:137], s[28:29], v[88:89]
	v_mul_f64_e32 v[138:139], s[28:29], v[62:63]
	;; [unrolled: 1-line block ×3, first 2 shown]
	v_add_f64_e32 v[102:103], v[104:105], v[102:103]
	v_fma_f64 v[104:105], v[52:53], s[12:13], -v[216:217]
	v_add_f64_e32 v[134:135], v[248:249], v[134:135]
	v_add_f64_e32 v[20:21], v[204:205], v[20:21]
	v_add_f64_e32 v[46:47], v[46:47], v[122:123]
	v_fma_f64 v[216:217], v[52:53], s[12:13], v[216:217]
	v_add_f64_e32 v[170:171], v[170:171], v[200:201]
	v_add_f64_e32 v[172:173], v[172:173], v[210:211]
	;; [unrolled: 1-line block ×4, first 2 shown]
	v_mul_f64_e32 v[142:143], s[14:15], v[92:93]
	v_add_f64_e32 v[32:33], v[232:233], v[32:33]
	v_fma_f64 v[232:233], v[90:91], s[16:17], -v[206:207]
	v_mul_f64_e32 v[188:189], s[40:41], v[92:93]
	v_mul_f64_e32 v[122:123], s[40:41], v[54:55]
	v_add_f64_e32 v[116:117], v[238:239], v[116:117]
	v_mul_f64_e32 v[226:227], s[18:19], v[92:93]
	v_mul_f64_e32 v[228:229], s[18:19], v[54:55]
	v_add_f64_e32 v[42:43], v[190:191], v[42:43]
	v_mul_f64_e32 v[190:191], s[48:49], v[54:55]
	v_mul_f64_e32 v[54:55], s[38:39], v[54:55]
	v_fma_f64 v[204:205], v[90:91], s[6:7], -v[112:113]
	v_add_f64_e32 v[26:27], v[252:253], v[26:27]
	v_fma_f64 v[252:253], v[48:49], s[6:7], v[24:25]
	v_add_f64_e32 v[34:35], v[154:155], v[34:35]
	v_fma_f64 v[154:155], v[60:61], s[26:27], v[214:215]
	v_add_f64_e32 v[30:31], v[250:251], v[30:31]
	v_add_f64_e32 v[10:11], v[100:101], v[10:11]
	;; [unrolled: 1-line block ×3, first 2 shown]
	v_fma_f64 v[186:187], v[90:91], s[26:27], -v[94:95]
	v_add_f64_e32 v[156:157], v[160:161], v[156:157]
	v_fma_f64 v[160:161], v[48:49], s[26:27], v[50:51]
	v_mul_f64_e32 v[220:221], s[38:39], v[84:85]
	v_add_f64_e32 v[124:125], v[128:129], v[124:125]
	v_fma_f64 v[128:129], v[90:91], s[30:31], -v[130:131]
	v_add_f64_e32 v[152:153], v[152:153], v[194:195]
	v_fma_f64 v[194:195], v[48:49], s[30:31], v[254:255]
	v_mul_f64_e32 v[234:235], s[18:19], v[84:85]
	v_add_f64_e32 v[40:41], v[218:219], v[40:41]
	v_add_f64_e32 v[102:103], v[104:105], v[102:103]
	v_mul_f64_e32 v[104:105], s[48:49], v[92:93]
	v_mul_f64_e32 v[92:93], s[38:39], v[92:93]
	v_add_f64_e32 v[20:21], v[182:183], v[20:21]
	v_fma_f64 v[182:183], v[90:91], s[0:1], -v[242:243]
	v_fma_f64 v[218:219], v[82:83], s[16:17], v[136:137]
	v_add_f64_e32 v[46:47], v[216:217], v[46:47]
	v_fma_f64 v[216:217], v[60:61], s[16:17], -v[138:139]
	v_add_f64_e32 v[192:193], v[244:245], v[192:193]
	v_fma_f64 v[244:245], v[82:83], s[0:1], v[114:115]
	v_fma_f64 v[250:251], v[48:49], s[0:1], v[246:247]
	v_add_f64_e32 v[16:17], v[16:17], v[134:135]
	v_fma_f64 v[206:207], v[90:91], s[16:17], v[206:207]
	v_fma_f64 v[198:199], v[48:49], s[16:17], -v[198:199]
	v_fma_f64 v[112:113], v[90:91], s[6:7], v[112:113]
	v_fma_f64 v[24:25], v[48:49], s[6:7], -v[24:25]
	;; [unrolled: 2-line block ×3, first 2 shown]
	v_add_f64_e32 v[158:159], v[162:163], v[158:159]
	v_add_f64_e32 v[162:163], v[168:169], v[164:165]
	v_add_f64_e32 v[58:59], v[58:59], v[166:167]
	v_add_f64_e32 v[164:165], v[174:175], v[170:171]
	v_add_f64_e32 v[166:167], v[184:185], v[172:173]
	v_add_f64_e32 v[6:7], v[14:15], v[6:7]
	v_add_f64_e32 v[4:5], v[12:13], v[4:5]
	v_add_f64_e32 v[12:13], v[180:181], v[28:29]
	v_fma_f64 v[14:15], v[90:91], s[0:1], v[242:243]
	v_add_f64_e32 v[18:19], v[18:19], v[178:179]
	v_fma_f64 v[28:29], v[48:49], s[0:1], -v[246:247]
	v_fma_f64 v[98:99], v[52:53], s[26:27], v[98:99]
	v_fma_f64 v[90:91], v[90:91], s[26:27], v[94:95]
	v_add_f64_e32 v[56:57], v[96:97], v[56:57]
	v_fma_f64 v[48:49], v[48:49], s[26:27], -v[50:51]
	v_add_f64_e32 v[36:37], v[44:45], v[36:37]
	v_mul_f64_e32 v[120:121], s[42:43], v[88:89]
	v_mul_f64_e32 v[238:239], s[24:25], v[88:89]
	v_add_f64_e32 v[32:33], v[232:233], v[32:33]
	v_fma_f64 v[232:233], v[86:87], s[0:1], -v[142:143]
	v_fma_f64 v[134:135], v[86:87], s[16:17], -v[188:189]
	v_fma_f64 v[100:101], v[52:53], s[16:17], v[122:123]
	v_add_f64_e32 v[116:117], v[204:205], v[116:117]
	v_add_f64_e32 v[38:39], v[252:253], v[38:39]
	;; [unrolled: 1-line block ×3, first 2 shown]
	v_mul_f64_e32 v[154:155], s[24:25], v[62:63]
	v_add_f64_e32 v[118:119], v[128:129], v[118:119]
	v_add_f64_e32 v[128:129], v[194:195], v[132:133]
	v_fma_f64 v[132:133], v[86:87], s[10:11], -v[226:227]
	v_fma_f64 v[168:169], v[52:53], s[10:11], v[228:229]
	v_mul_f64_e32 v[170:171], s[36:37], v[88:89]
	v_mul_f64_e32 v[172:173], s[36:37], v[62:63]
	v_add_f64_e32 v[30:31], v[182:183], v[30:31]
	v_mul_f64_e32 v[180:181], s[44:45], v[88:89]
	v_mul_f64_e32 v[182:183], s[44:45], v[62:63]
	v_add_f64_e32 v[10:11], v[186:187], v[10:11]
	v_fma_f64 v[184:185], v[86:87], s[30:31], -v[92:93]
	v_mul_f64_e32 v[88:89], s[22:23], v[88:89]
	v_add_f64_e32 v[8:9], v[160:161], v[8:9]
	v_fma_f64 v[160:161], v[52:53], s[30:31], v[54:55]
	v_mul_f64_e32 v[62:63], s[22:23], v[62:63]
	v_fma_f64 v[126:127], v[76:77], s[30:31], v[220:221]
	v_add_f64_e32 v[40:41], v[218:219], v[40:41]
	v_add_f64_e32 v[102:103], v[216:217], v[102:103]
	v_fma_f64 v[216:217], v[76:77], s[10:11], v[234:235]
	v_add_f64_e32 v[192:193], v[244:245], v[192:193]
	v_add_f64_e32 v[16:17], v[250:251], v[16:17]
	v_fma_f64 v[174:175], v[86:87], s[2:3], -v[104:105]
	v_fma_f64 v[178:179], v[52:53], s[2:3], v[190:191]
	v_add_f64_e32 v[156:157], v[206:207], v[156:157]
	v_fma_f64 v[142:143], v[86:87], s[0:1], v[142:143]
	v_add_f64_e32 v[158:159], v[198:199], v[158:159]
	v_fma_f64 v[186:187], v[52:53], s[0:1], -v[212:213]
	v_add_f64_e32 v[112:113], v[112:113], v[162:163]
	v_fma_f64 v[94:95], v[86:87], s[16:17], v[188:189]
	v_add_f64_e32 v[24:25], v[24:25], v[58:59]
	v_fma_f64 v[44:45], v[52:53], s[16:17], -v[122:123]
	v_add_f64_e32 v[50:51], v[130:131], v[164:165]
	v_fma_f64 v[58:59], v[86:87], s[10:11], v[226:227]
	v_add_f64_e32 v[96:97], v[254:255], v[166:167]
	v_fma_f64 v[122:123], v[52:53], s[10:11], -v[228:229]
	v_add_f64_e32 v[12:13], v[14:15], v[12:13]
	v_fma_f64 v[14:15], v[86:87], s[2:3], v[104:105]
	v_add_f64_e32 v[18:19], v[28:29], v[18:19]
	v_fma_f64 v[28:29], v[52:53], s[2:3], -v[190:191]
	v_mul_f64_e32 v[210:211], s[14:15], v[66:67]
	v_mul_f64_e32 v[150:151], s[36:37], v[66:67]
	v_add_f64_e32 v[22:23], v[98:99], v[22:23]
	v_fma_f64 v[208:209], v[60:61], s[10:11], v[208:209]
	v_fma_f64 v[86:87], v[86:87], s[30:31], v[92:93]
	v_add_f64_e32 v[56:57], v[90:91], v[56:57]
	v_fma_f64 v[52:53], v[52:53], s[30:31], -v[54:55]
	v_add_f64_e32 v[36:37], v[48:49], v[36:37]
	v_mul_f64_e32 v[222:223], s[38:39], v[66:67]
	v_mul_f64_e32 v[200:201], s[14:15], v[84:85]
	;; [unrolled: 1-line block ×3, first 2 shown]
	v_fma_f64 v[138:139], v[60:61], s[16:17], v[138:139]
	v_add_f64_e32 v[32:33], v[232:233], v[32:33]
	v_fma_f64 v[232:233], v[82:83], s[26:27], -v[120:121]
	v_add_f64_e32 v[116:117], v[134:135], v[116:117]
	v_add_f64_e32 v[38:39], v[100:101], v[38:39]
	v_fma_f64 v[100:101], v[82:83], s[2:3], -v[238:239]
	v_fma_f64 v[134:135], v[60:61], s[2:3], v[154:155]
	v_mul_f64_e32 v[162:163], s[50:51], v[84:85]
	v_mul_f64_e32 v[164:165], s[50:51], v[66:67]
	v_add_f64_e32 v[118:119], v[132:133], v[118:119]
	v_add_f64_e32 v[128:129], v[168:169], v[128:129]
	v_fma_f64 v[132:133], v[82:83], s[6:7], -v[170:171]
	v_fma_f64 v[166:167], v[60:61], s[6:7], v[172:173]
	v_mul_f64_e32 v[168:169], s[34:35], v[84:85]
	v_mul_f64_e32 v[188:189], s[34:35], v[66:67]
	;; [unrolled: 1-line block ×3, first 2 shown]
	v_add_f64_e32 v[10:11], v[184:185], v[10:11]
	v_fma_f64 v[184:185], v[82:83], s[12:13], -v[88:89]
	v_mul_f64_e32 v[84:85], s[24:25], v[84:85]
	v_add_f64_e32 v[8:9], v[160:161], v[8:9]
	v_fma_f64 v[48:49], v[60:61], s[12:13], v[62:63]
	v_mul_f64_e32 v[54:55], s[24:25], v[66:67]
	v_fma_f64 v[136:137], v[82:83], s[16:17], -v[136:137]
	v_add_f64_e32 v[40:41], v[126:127], v[40:41]
	v_add_f64_e32 v[126:127], v[216:217], v[192:193]
	;; [unrolled: 1-line block ×4, first 2 shown]
	v_fma_f64 v[174:175], v[82:83], s[30:31], -v[180:181]
	v_fma_f64 v[178:179], v[60:61], s[30:31], v[182:183]
	v_mul_f64_e32 v[192:193], s[28:29], v[66:67]
	v_fma_f64 v[196:197], v[82:83], s[10:11], -v[196:197]
	v_mul_f64_e32 v[236:237], s[18:19], v[66:67]
	v_fma_f64 v[114:115], v[82:83], s[0:1], -v[114:115]
	v_add_f64_e32 v[66:67], v[142:143], v[156:157]
	v_add_f64_e32 v[90:91], v[186:187], v[158:159]
	;; [unrolled: 1-line block ×8, first 2 shown]
	v_fma_f64 v[18:19], v[82:83], s[26:27], v[120:121]
	v_fma_f64 v[28:29], v[60:61], s[26:27], -v[214:215]
	v_fma_f64 v[58:59], v[82:83], s[2:3], v[238:239]
	v_fma_f64 v[94:95], v[60:61], s[2:3], -v[154:155]
	;; [unrolled: 2-line block ×4, first 2 shown]
	v_add_f64_e32 v[202:203], v[224:225], v[202:203]
	v_fma_f64 v[224:225], v[64:65], s[0:1], -v[210:211]
	v_fma_f64 v[210:211], v[64:65], s[0:1], v[210:211]
	v_add_f64_e32 v[22:23], v[208:209], v[22:23]
	v_fma_f64 v[130:131], v[64:65], s[6:7], v[150:151]
	v_fma_f64 v[82:83], v[82:83], s[12:13], v[88:89]
	v_add_f64_e32 v[56:57], v[86:87], v[56:57]
	v_fma_f64 v[60:61], v[60:61], s[12:13], -v[62:63]
	v_add_f64_e32 v[36:37], v[52:53], v[36:37]
	v_mul_f64_e32 v[144:145], s[42:43], v[78:79]
	v_mul_f64_e32 v[146:147], s[42:43], v[80:81]
	;; [unrolled: 1-line block ×6, first 2 shown]
	v_fma_f64 v[230:231], v[64:65], s[30:31], -v[222:223]
	v_fma_f64 v[222:223], v[64:65], s[30:31], v[222:223]
	v_add_f64_e32 v[46:47], v[138:139], v[46:47]
	v_add_f64_e32 v[32:33], v[232:233], v[32:33]
	v_fma_f64 v[104:105], v[76:77], s[6:7], -v[148:149]
	v_mul_f64_e32 v[142:143], s[22:23], v[78:79]
	v_mul_f64_e32 v[154:155], s[22:23], v[80:81]
	v_add_f64_e32 v[100:101], v[100:101], v[116:117]
	v_add_f64_e32 v[38:39], v[134:135], v[38:39]
	v_fma_f64 v[116:117], v[76:77], s[12:13], -v[162:163]
	v_fma_f64 v[134:135], v[64:65], s[12:13], v[164:165]
	v_mul_f64_e32 v[156:157], s[18:19], v[78:79]
	v_mul_f64_e32 v[158:159], s[18:19], v[80:81]
	v_add_f64_e32 v[118:119], v[132:133], v[118:119]
	v_add_f64_e32 v[128:129], v[166:167], v[128:129]
	v_fma_f64 v[132:133], v[76:77], s[26:27], -v[168:169]
	v_fma_f64 v[160:161], v[64:65], s[26:27], v[188:189]
	v_mul_f64_e32 v[166:167], s[24:25], v[78:79]
	v_mul_f64_e32 v[170:171], s[24:25], v[80:81]
	;; [unrolled: 1-line block ×4, first 2 shown]
	v_add_f64_e32 v[10:11], v[184:185], v[10:11]
	v_fma_f64 v[172:173], v[76:77], s[2:3], -v[84:85]
	v_add_f64_e32 v[8:9], v[48:49], v[8:9]
	v_fma_f64 v[48:49], v[64:65], s[2:3], v[54:55]
	v_mul_f64_e32 v[78:79], s[14:15], v[78:79]
	v_mul_f64_e32 v[80:81], s[14:15], v[80:81]
	v_fma_f64 v[220:221], v[76:77], s[30:31], -v[220:221]
	v_add_f64_e32 v[42:43], v[136:137], v[42:43]
	v_add_f64_e32 v[30:31], v[174:175], v[30:31]
	;; [unrolled: 1-line block ×3, first 2 shown]
	v_fma_f64 v[52:53], v[76:77], s[16:17], -v[190:191]
	v_fma_f64 v[62:63], v[64:65], s[16:17], v[192:193]
	v_fma_f64 v[244:245], v[76:77], s[0:1], v[200:201]
	v_fma_f64 v[200:201], v[76:77], s[0:1], -v[200:201]
	v_add_f64_e32 v[26:27], v[196:197], v[26:27]
	v_fma_f64 v[136:137], v[64:65], s[10:11], -v[236:237]
	v_fma_f64 v[234:235], v[76:77], s[10:11], -v[234:235]
	v_fma_f64 v[236:237], v[64:65], s[10:11], v[236:237]
	v_add_f64_e32 v[110:111], v[114:115], v[110:111]
	v_add_f64_e32 v[18:19], v[18:19], v[66:67]
	v_add_f64_e32 v[28:29], v[28:29], v[90:91]
	v_add_f64_e32 v[58:59], v[58:59], v[92:93]
	v_add_f64_e32 v[24:25], v[94:95], v[24:25]
	v_add_f64_e32 v[44:45], v[96:97], v[44:45]
	v_add_f64_e32 v[50:51], v[112:113], v[50:51]
	v_fma_f64 v[66:67], v[76:77], s[6:7], v[148:149]
	v_fma_f64 v[90:91], v[64:65], s[6:7], -v[150:151]
	v_fma_f64 v[92:93], v[76:77], s[12:13], v[162:163]
	v_fma_f64 v[94:95], v[64:65], s[12:13], -v[164:165]
	;; [unrolled: 2-line block ×3, first 2 shown]
	v_add_f64_e32 v[12:13], v[120:121], v[12:13]
	v_add_f64_e32 v[14:15], v[122:123], v[14:15]
	v_fma_f64 v[120:121], v[76:77], s[16:17], v[190:191]
	v_fma_f64 v[122:123], v[64:65], s[16:17], -v[192:193]
	v_add_f64_e32 v[162:163], v[210:211], v[22:23]
	v_fma_f64 v[22:23], v[76:77], s[2:3], v[84:85]
	v_add_f64_e32 v[56:57], v[82:83], v[56:57]
	v_add_f64_e32 v[76:77], v[130:131], v[34:35]
	v_fma_f64 v[34:35], v[64:65], s[2:3], -v[54:55]
	v_add_f64_e32 v[36:37], v[60:61], v[36:37]
	v_fma_f64 v[218:219], v[74:75], s[26:27], -v[146:147]
	v_fma_f64 v[146:147], v[74:75], s[26:27], v[146:147]
	v_add_f64_e32 v[46:47], v[222:223], v[46:47]
	v_add_f64_e32 v[32:33], v[104:105], v[32:33]
	;; [unrolled: 1-line block ×8, first 2 shown]
	v_fma_f64 v[134:135], v[72:73], s[0:1], -v[78:79]
	v_fma_f64 v[160:161], v[74:75], s[0:1], v[80:81]
	v_fma_f64 v[98:99], v[72:73], s[26:27], v[144:145]
	v_fma_f64 v[144:145], v[72:73], s[26:27], -v[144:145]
	v_add_f64_e32 v[42:43], v[220:221], v[42:43]
	v_add_f64_e32 v[52:53], v[52:53], v[30:31]
	;; [unrolled: 1-line block ×3, first 2 shown]
	v_fma_f64 v[128:129], v[72:73], s[6:7], -v[86:87]
	v_fma_f64 v[130:131], v[74:75], s[6:7], v[88:89]
	v_fma_f64 v[38:39], v[72:73], s[10:11], -v[156:157]
	v_fma_f64 v[116:117], v[72:73], s[2:3], -v[166:167]
	v_fma_f64 v[118:119], v[74:75], s[2:3], v[170:171]
	v_fma_f64 v[54:55], v[72:73], s[12:13], -v[142:143]
	v_fma_f64 v[84:85], v[74:75], s[10:11], v[158:159]
	v_fma_f64 v[60:61], v[74:75], s[12:13], v[154:155]
	v_fma_f64 v[150:151], v[74:75], s[16:17], -v[140:141]
	v_add_f64_e32 v[26:27], v[200:201], v[26:27]
	v_fma_f64 v[164:165], v[72:73], s[16:17], -v[176:177]
	v_fma_f64 v[140:141], v[74:75], s[16:17], v[140:141]
	v_fma_f64 v[138:139], v[72:73], s[30:31], v[240:241]
	v_fma_f64 v[114:115], v[74:75], s[30:31], -v[248:249]
	v_fma_f64 v[240:241], v[72:73], s[30:31], -v[240:241]
	v_fma_f64 v[248:249], v[74:75], s[30:31], v[248:249]
	v_add_f64_e32 v[110:111], v[234:235], v[110:111]
	v_add_f64_e32 v[124:125], v[236:237], v[124:125]
	v_add_f64_e32 v[102:103], v[230:231], v[102:103]
	v_add_f64_e32 v[136:137], v[136:137], v[202:203]
	v_add_f64_e32 v[152:153], v[244:245], v[152:153]
	v_add_f64_e32 v[20:21], v[224:225], v[20:21]
	v_fma_f64 v[148:149], v[72:73], s[16:17], v[176:177]
	v_add_f64_e32 v[66:67], v[66:67], v[18:19]
	v_add_f64_e32 v[90:91], v[90:91], v[28:29]
	;; [unrolled: 1-line block ×6, first 2 shown]
	v_fma_f64 v[50:51], v[72:73], s[12:13], v[142:143]
	v_fma_f64 v[154:155], v[74:75], s[12:13], -v[154:155]
	v_add_f64_e32 v[112:113], v[120:121], v[12:13]
	v_add_f64_e32 v[120:121], v[122:123], v[14:15]
	v_fma_f64 v[122:123], v[72:73], s[10:11], v[156:157]
	v_fma_f64 v[156:157], v[74:75], s[10:11], -v[158:159]
	v_fma_f64 v[142:143], v[72:73], s[2:3], v[166:167]
	v_fma_f64 v[86:87], v[72:73], s[6:7], v[86:87]
	;; [unrolled: 1-line block ×3, first 2 shown]
	v_fma_f64 v[78:79], v[74:75], s[2:3], -v[170:171]
	v_fma_f64 v[88:89], v[74:75], s[6:7], -v[88:89]
	v_add_f64_e32 v[158:159], v[22:23], v[56:57]
	v_fma_f64 v[74:75], v[74:75], s[0:1], -v[80:81]
	v_add_f64_e32 v[80:81], v[34:35], v[36:37]
	v_add_f64_e32 v[2:3], v[6:7], v[2:3]
	;; [unrolled: 1-line block ×34, first 2 shown]
	v_mul_u32_u24_e32 v72, 0x110, v68
	v_add_f64_e32 v[64:65], v[74:75], v[80:81]
	s_delay_alu instid0(VALU_DEP_2)
	v_add3_u32 v72, 0, v72, v109
	ds_store_b128 v72, v[0:3]
	ds_store_b128 v72, v[44:47] offset:16
	ds_store_b128 v72, v[40:43] offset:32
	;; [unrolled: 1-line block ×16, first 2 shown]
.LBB0_12:
	s_or_b32 exec_lo, exec_lo, s33
	v_mul_u32_u24_e32 v0, 9, v68
	global_wb scope:SCOPE_SE
	s_wait_dscnt 0x0
	s_barrier_signal -1
	s_barrier_wait -1
	global_inv scope:SCOPE_SE
	v_lshlrev_b32_e32 v32, 4, v0
	s_mov_b32 s6, 0x134454ff
	s_mov_b32 s7, 0xbfee6f0e
	;; [unrolled: 1-line block ×3, first 2 shown]
	s_wait_alu 0xfffe
	s_mov_b32 s0, s6
	s_clause 0x8
	global_load_b128 v[0:3], v32, s[4:5] offset:32
	global_load_b128 v[4:7], v32, s[4:5] offset:64
	;; [unrolled: 1-line block ×4, first 2 shown]
	global_load_b128 v[16:19], v32, s[4:5]
	global_load_b128 v[20:23], v32, s[4:5] offset:16
	global_load_b128 v[24:27], v32, s[4:5] offset:48
	;; [unrolled: 1-line block ×4, first 2 shown]
	ds_load_b128 v[36:39], v108 offset:816
	ds_load_b128 v[40:43], v108 offset:1360
	;; [unrolled: 1-line block ×6, first 2 shown]
	s_mov_b32 s12, 0x4755a5e
	s_mov_b32 s13, 0xbfe2cf23
	s_mov_b32 s3, 0x3fe2cf23
	s_wait_alu 0xfffe
	s_mov_b32 s2, s12
	s_mov_b32 s10, 0x372fe950
	;; [unrolled: 1-line block ×6, first 2 shown]
	s_wait_alu 0xfffe
	s_mov_b32 s16, s10
	s_mov_b32 s19, 0xbfe9e377
	;; [unrolled: 1-line block ×3, first 2 shown]
	s_wait_loadcnt_dscnt 0x805
	v_mul_f64_e32 v[60:61], v[36:37], v[2:3]
	s_wait_loadcnt_dscnt 0x704
	v_mul_f64_e32 v[62:63], v[40:41], v[6:7]
	;; [unrolled: 2-line block ×5, first 2 shown]
	v_mul_f64_e32 v[2:3], v[38:39], v[2:3]
	v_mul_f64_e32 v[6:7], v[42:43], v[6:7]
	;; [unrolled: 1-line block ×4, first 2 shown]
	s_wait_loadcnt_dscnt 0x300
	v_mul_f64_e32 v[78:79], v[58:59], v[22:23]
	v_mul_f64_e32 v[22:23], v[56:57], v[22:23]
	;; [unrolled: 1-line block ×3, first 2 shown]
	v_fma_f64 v[38:39], v[38:39], v[0:1], -v[60:61]
	v_fma_f64 v[42:43], v[42:43], v[4:5], -v[62:63]
	;; [unrolled: 1-line block ×4, first 2 shown]
	ds_load_b128 v[60:63], v108 offset:1088
	ds_load_b128 v[64:67], v108 offset:1632
	;; [unrolled: 1-line block ×3, first 2 shown]
	v_fma_f64 v[36:37], v[36:37], v[0:1], v[2:3]
	v_fma_f64 v[4:5], v[40:41], v[4:5], v[6:7]
	;; [unrolled: 1-line block ×4, first 2 shown]
	v_fma_f64 v[10:11], v[54:55], v[16:17], -v[76:77]
	v_fma_f64 v[12:13], v[56:57], v[20:21], v[78:79]
	v_fma_f64 v[14:15], v[58:59], v[20:21], -v[22:23]
	v_fma_f64 v[16:17], v[52:53], v[16:17], v[18:19]
	s_wait_loadcnt_dscnt 0x202
	v_mul_f64_e32 v[80:81], v[62:63], v[26:27]
	v_mul_f64_e32 v[26:27], v[60:61], v[26:27]
	s_wait_loadcnt_dscnt 0x101
	v_mul_f64_e32 v[82:83], v[66:67], v[30:31]
	s_wait_loadcnt_dscnt 0x0
	v_mul_f64_e32 v[84:85], v[74:75], v[34:35]
	v_mul_f64_e32 v[30:31], v[64:65], v[30:31]
	;; [unrolled: 1-line block ×3, first 2 shown]
	v_add_f64_e32 v[0:1], v[42:43], v[46:47]
	v_add_f64_e32 v[2:3], v[38:39], v[50:51]
	v_add_f64_e64 v[88:89], v[36:37], -v[4:5]
	v_add_f64_e32 v[18:19], v[4:5], v[6:7]
	v_add_f64_e64 v[40:41], v[4:5], -v[6:7]
	v_add_f64_e64 v[90:91], v[8:9], -v[6:7]
	;; [unrolled: 1-line block ×3, first 2 shown]
	v_fma_f64 v[20:21], v[60:61], v[24:25], v[80:81]
	v_fma_f64 v[22:23], v[62:63], v[24:25], -v[26:27]
	v_fma_f64 v[24:25], v[64:65], v[28:29], v[82:83]
	v_fma_f64 v[26:27], v[72:73], v[32:33], v[84:85]
	v_fma_f64 v[28:29], v[66:67], v[28:29], -v[30:31]
	v_fma_f64 v[30:31], v[74:75], v[32:33], -v[34:35]
	v_add_f64_e32 v[32:33], v[36:37], v[8:9]
	v_add_f64_e64 v[34:35], v[36:37], -v[8:9]
	v_add_f64_e64 v[60:61], v[38:39], -v[50:51]
	;; [unrolled: 1-line block ×7, first 2 shown]
	v_fma_f64 v[44:45], v[0:1], -0.5, v[10:11]
	v_fma_f64 v[48:49], v[2:3], -0.5, v[10:11]
	ds_load_b128 v[0:3], v106
	v_add_f64_e32 v[10:11], v[10:11], v[38:39]
	global_wb scope:SCOPE_SE
	s_wait_dscnt 0x0
	v_fma_f64 v[18:19], v[18:19], -0.5, v[16:17]
	s_barrier_signal -1
	s_barrier_wait -1
	global_inv scope:SCOPE_SE
	v_add_f64_e64 v[94:95], v[14:15], -v[22:23]
	v_add_f64_e32 v[52:53], v[20:21], v[24:25]
	v_add_f64_e32 v[54:55], v[12:13], v[26:27]
	;; [unrolled: 1-line block ×4, first 2 shown]
	v_fma_f64 v[32:33], v[32:33], -0.5, v[16:17]
	v_add_f64_e32 v[80:81], v[0:1], v[12:13]
	v_add_f64_e32 v[86:87], v[2:3], v[14:15]
	;; [unrolled: 1-line block ×3, first 2 shown]
	v_add_f64_e64 v[82:83], v[14:15], -v[30:31]
	v_add_f64_e64 v[36:37], v[4:5], -v[36:37]
	;; [unrolled: 1-line block ×6, first 2 shown]
	v_fma_f64 v[76:77], v[34:35], s[0:1], v[44:45]
	v_fma_f64 v[78:79], v[40:41], s[6:7], v[48:49]
	;; [unrolled: 1-line block ×4, first 2 shown]
	v_add_f64_e32 v[10:11], v[10:11], v[42:43]
	v_fma_f64 v[38:39], v[52:53], -0.5, v[0:1]
	v_add_f64_e64 v[52:53], v[12:13], -v[26:27]
	v_fma_f64 v[0:1], v[54:55], -0.5, v[0:1]
	v_add_f64_e64 v[54:55], v[20:21], -v[24:25]
	v_fma_f64 v[56:57], v[56:57], -0.5, v[2:3]
	v_fma_f64 v[2:3], v[58:59], -0.5, v[2:3]
	v_add_f64_e32 v[58:59], v[62:63], v[64:65]
	v_add_f64_e32 v[62:63], v[66:67], v[72:73]
	v_fma_f64 v[64:65], v[60:61], s[6:7], v[18:19]
	v_fma_f64 v[18:19], v[60:61], s[0:1], v[18:19]
	;; [unrolled: 1-line block ×4, first 2 shown]
	v_add_f64_e32 v[22:23], v[86:87], v[22:23]
	v_add_f64_e32 v[4:5], v[16:17], v[4:5]
	;; [unrolled: 1-line block ×4, first 2 shown]
	v_fma_f64 v[72:73], v[40:41], s[2:3], v[76:77]
	v_fma_f64 v[76:77], v[34:35], s[2:3], v[78:79]
	;; [unrolled: 1-line block ×4, first 2 shown]
	v_add_f64_e64 v[44:45], v[12:13], -v[20:21]
	v_add_f64_e64 v[12:13], v[20:21], -v[12:13]
	v_add_f64_e32 v[20:21], v[80:81], v[20:21]
	v_add_f64_e64 v[48:49], v[26:27], -v[24:25]
	v_add_f64_e64 v[78:79], v[24:25], -v[26:27]
	v_add_f64_e32 v[14:15], v[14:15], v[98:99]
	v_fma_f64 v[42:43], v[82:83], s[6:7], v[38:39]
	v_fma_f64 v[38:39], v[82:83], s[0:1], v[38:39]
	;; [unrolled: 1-line block ×12, first 2 shown]
	v_add_f64_e32 v[22:23], v[22:23], v[28:29]
	v_add_f64_e32 v[4:5], v[4:5], v[6:7]
	;; [unrolled: 1-line block ×3, first 2 shown]
	v_fma_f64 v[60:61], v[58:59], s[10:11], v[72:73]
	v_fma_f64 v[72:73], v[62:63], s[10:11], v[76:77]
	;; [unrolled: 1-line block ×4, first 2 shown]
	v_add_f64_e32 v[20:21], v[20:21], v[24:25]
	v_add_f64_e32 v[44:45], v[44:45], v[48:49]
	;; [unrolled: 1-line block ×4, first 2 shown]
	v_fma_f64 v[10:11], v[84:85], s[12:13], v[42:43]
	v_fma_f64 v[24:25], v[84:85], s[2:3], v[38:39]
	;; [unrolled: 1-line block ×12, first 2 shown]
	v_add_f64_e32 v[22:23], v[22:23], v[30:31]
	v_add_f64_e32 v[4:5], v[4:5], v[8:9]
	;; [unrolled: 1-line block ×3, first 2 shown]
	v_mul_f64_e32 v[36:37], s[12:13], v[60:61]
	v_mul_f64_e32 v[60:61], s[14:15], v[60:61]
	v_mul_f64_e32 v[54:55], s[6:7], v[72:73]
	v_mul_f64_e32 v[56:57], s[6:7], v[34:35]
	v_mul_f64_e32 v[62:63], s[10:11], v[72:73]
	s_wait_alu 0xfffe
	v_mul_f64_e32 v[34:35], s[16:17], v[34:35]
	v_mul_f64_e32 v[58:59], s[12:13], v[40:41]
	;; [unrolled: 1-line block ×3, first 2 shown]
	v_add_f64_e32 v[20:21], v[20:21], v[26:27]
	v_fma_f64 v[26:27], v[44:45], s[10:11], v[10:11]
	v_fma_f64 v[30:31], v[44:45], s[10:11], v[24:25]
	;; [unrolled: 1-line block ×8, first 2 shown]
	v_add_f64_e32 v[2:3], v[22:23], v[6:7]
	v_add_f64_e64 v[6:7], v[22:23], -v[6:7]
	v_fma_f64 v[24:25], v[52:53], s[14:15], v[36:37]
	v_fma_f64 v[52:53], v[52:53], s[2:3], v[60:61]
	v_fma_f64 v[36:37], v[18:19], s[10:11], v[54:55]
	v_fma_f64 v[50:51], v[32:33], s[16:17], v[56:57]
	v_fma_f64 v[56:57], v[18:19], s[0:1], v[62:63]
	v_fma_f64 v[34:35], v[32:33], s[0:1], v[34:35]
	v_fma_f64 v[54:55], v[16:17], s[18:19], v[58:59]
	v_fma_f64 v[40:41], v[16:17], s[2:3], v[40:41]
	v_add_f64_e32 v[0:1], v[20:21], v[4:5]
	v_add_f64_e64 v[4:5], v[20:21], -v[4:5]
	s_mov_b32 s1, exec_lo
	v_add_f64_e32 v[8:9], v[26:27], v[24:25]
	v_add_f64_e32 v[10:11], v[38:39], v[52:53]
	;; [unrolled: 1-line block ×8, first 2 shown]
	v_add_f64_e64 v[24:25], v[26:27], -v[24:25]
	v_add_f64_e64 v[26:27], v[38:39], -v[52:53]
	;; [unrolled: 1-line block ×8, first 2 shown]
	ds_store_b128 v108, v[0:3]
	ds_store_b128 v108, v[8:11] offset:272
	ds_store_b128 v108, v[12:15] offset:544
	;; [unrolled: 1-line block ×9, first 2 shown]
	global_wb scope:SCOPE_SE
	s_wait_dscnt 0x0
	s_barrier_signal -1
	s_barrier_wait -1
	global_inv scope:SCOPE_SE
	ds_load_b128 v[4:7], v106
	v_sub_nc_u32_e32 v14, v69, v107
                                        ; implicit-def: $vgpr0_vgpr1
                                        ; implicit-def: $vgpr8_vgpr9
                                        ; implicit-def: $vgpr10_vgpr11
                                        ; implicit-def: $vgpr12_vgpr13
	v_cmpx_ne_u32_e32 0, v68
	s_wait_alu 0xfffe
	s_xor_b32 s1, exec_lo, s1
	s_cbranch_execz .LBB0_14
; %bb.13:
	v_mov_b32_e32 v69, 0
	s_delay_alu instid0(VALU_DEP_1) | instskip(NEXT) | instid1(VALU_DEP_1)
	v_lshlrev_b64_e32 v[0:1], 4, v[68:69]
	v_add_co_u32 v0, s0, s4, v0
	s_wait_alu 0xf1ff
	s_delay_alu instid0(VALU_DEP_2)
	v_add_co_ci_u32_e64 v1, s0, s5, v1, s0
	global_load_b128 v[15:18], v[0:1], off offset:2448
	ds_load_b128 v[0:3], v14 offset:2720
	s_wait_dscnt 0x0
	v_add_f64_e64 v[8:9], v[4:5], -v[0:1]
	v_add_f64_e32 v[10:11], v[6:7], v[2:3]
	v_add_f64_e64 v[2:3], v[6:7], -v[2:3]
	v_add_f64_e32 v[0:1], v[4:5], v[0:1]
	s_delay_alu instid0(VALU_DEP_4) | instskip(NEXT) | instid1(VALU_DEP_4)
	v_mul_f64_e32 v[6:7], 0.5, v[8:9]
	v_mul_f64_e32 v[4:5], 0.5, v[10:11]
	s_delay_alu instid0(VALU_DEP_4) | instskip(SKIP_1) | instid1(VALU_DEP_3)
	v_mul_f64_e32 v[2:3], 0.5, v[2:3]
	s_wait_loadcnt 0x0
	v_mul_f64_e32 v[8:9], v[6:7], v[17:18]
	s_delay_alu instid0(VALU_DEP_2) | instskip(SKIP_1) | instid1(VALU_DEP_3)
	v_fma_f64 v[10:11], v[4:5], v[17:18], v[2:3]
	v_fma_f64 v[2:3], v[4:5], v[17:18], -v[2:3]
	v_fma_f64 v[12:13], v[0:1], 0.5, v[8:9]
	v_fma_f64 v[0:1], v[0:1], 0.5, -v[8:9]
	s_delay_alu instid0(VALU_DEP_4) | instskip(NEXT) | instid1(VALU_DEP_4)
	v_fma_f64 v[10:11], -v[15:16], v[6:7], v[10:11]
	v_fma_f64 v[2:3], -v[15:16], v[6:7], v[2:3]
	s_delay_alu instid0(VALU_DEP_4) | instskip(NEXT) | instid1(VALU_DEP_4)
	v_fma_f64 v[8:9], v[4:5], v[15:16], v[12:13]
	v_fma_f64 v[0:1], -v[4:5], v[15:16], v[0:1]
	v_dual_mov_b32 v12, v68 :: v_dual_mov_b32 v13, v69
                                        ; implicit-def: $vgpr4_vgpr5
                                        ; implicit-def: $vgpr69
.LBB0_14:
	s_wait_alu 0xfffe
	s_and_not1_saveexec_b32 s0, s1
	s_cbranch_execz .LBB0_16
; %bb.15:
	s_wait_dscnt 0x0
	v_add_f64_e32 v[8:9], v[4:5], v[6:7]
	v_add_f64_e64 v[0:1], v[4:5], -v[6:7]
	ds_load_b64 v[4:5], v69 offset:1368
	v_mov_b32_e32 v10, 0
	v_dual_mov_b32 v11, 0 :: v_dual_mov_b32 v12, 0
	s_delay_alu instid0(VALU_DEP_2) | instskip(NEXT) | instid1(VALU_DEP_2)
	v_dual_mov_b32 v13, 0 :: v_dual_mov_b32 v2, v10
	v_mov_b32_e32 v3, v11
	s_wait_dscnt 0x0
	v_xor_b32_e32 v5, 0x80000000, v5
	ds_store_b64 v69, v[4:5] offset:1368
.LBB0_16:
	s_wait_alu 0xfffe
	s_or_b32 exec_lo, exec_lo, s0
	s_wait_dscnt 0x0
	v_lshlrev_b64_e32 v[4:5], 4, v[12:13]
	s_add_nc_u64 s[0:1], s[4:5], 0x990
	s_wait_alu 0xfffe
	s_delay_alu instid0(VALU_DEP_1) | instskip(SKIP_1) | instid1(VALU_DEP_2)
	v_add_co_u32 v23, s0, s0, v4
	s_wait_alu 0xf1ff
	v_add_co_ci_u32_e64 v24, s0, s1, v5, s0
	s_clause 0x1
	global_load_b128 v[15:18], v[23:24], off offset:272
	global_load_b128 v[19:22], v[23:24], off offset:544
	ds_store_2addr_b64 v106, v[8:9], v[10:11] offset1:1
	ds_store_b128 v14, v[0:3] offset:2720
	ds_load_b128 v[0:3], v106 offset:272
	ds_load_b128 v[6:9], v14 offset:2448
	s_wait_dscnt 0x0
	v_add_f64_e64 v[10:11], v[0:1], -v[6:7]
	v_add_f64_e32 v[12:13], v[2:3], v[8:9]
	v_add_f64_e64 v[2:3], v[2:3], -v[8:9]
	v_add_f64_e32 v[0:1], v[0:1], v[6:7]
	s_delay_alu instid0(VALU_DEP_4) | instskip(NEXT) | instid1(VALU_DEP_4)
	v_mul_f64_e32 v[8:9], 0.5, v[10:11]
	v_mul_f64_e32 v[10:11], 0.5, v[12:13]
	s_delay_alu instid0(VALU_DEP_4) | instskip(SKIP_1) | instid1(VALU_DEP_3)
	v_mul_f64_e32 v[2:3], 0.5, v[2:3]
	s_wait_loadcnt 0x1
	v_mul_f64_e32 v[6:7], v[8:9], v[17:18]
	s_delay_alu instid0(VALU_DEP_2) | instskip(SKIP_1) | instid1(VALU_DEP_3)
	v_fma_f64 v[12:13], v[10:11], v[17:18], v[2:3]
	v_fma_f64 v[2:3], v[10:11], v[17:18], -v[2:3]
	v_fma_f64 v[17:18], v[0:1], 0.5, v[6:7]
	v_fma_f64 v[0:1], v[0:1], 0.5, -v[6:7]
	s_delay_alu instid0(VALU_DEP_4) | instskip(NEXT) | instid1(VALU_DEP_4)
	v_fma_f64 v[12:13], -v[15:16], v[8:9], v[12:13]
	v_fma_f64 v[2:3], -v[15:16], v[8:9], v[2:3]
	global_load_b128 v[6:9], v[23:24], off offset:816
	v_fma_f64 v[17:18], v[10:11], v[15:16], v[17:18]
	v_fma_f64 v[0:1], -v[10:11], v[15:16], v[0:1]
	ds_store_2addr_b64 v106, v[17:18], v[12:13] offset0:34 offset1:35
	ds_store_b128 v14, v[0:3] offset:2448
	ds_load_b128 v[0:3], v106 offset:544
	ds_load_b128 v[10:13], v14 offset:2176
	s_wait_dscnt 0x0
	v_add_f64_e64 v[15:16], v[0:1], -v[10:11]
	v_add_f64_e32 v[17:18], v[2:3], v[12:13]
	v_add_f64_e64 v[2:3], v[2:3], -v[12:13]
	v_add_f64_e32 v[0:1], v[0:1], v[10:11]
	s_delay_alu instid0(VALU_DEP_4) | instskip(NEXT) | instid1(VALU_DEP_4)
	v_mul_f64_e32 v[12:13], 0.5, v[15:16]
	v_mul_f64_e32 v[15:16], 0.5, v[17:18]
	s_delay_alu instid0(VALU_DEP_4) | instskip(SKIP_1) | instid1(VALU_DEP_3)
	v_mul_f64_e32 v[2:3], 0.5, v[2:3]
	s_wait_loadcnt 0x1
	v_mul_f64_e32 v[10:11], v[12:13], v[21:22]
	s_delay_alu instid0(VALU_DEP_2) | instskip(SKIP_1) | instid1(VALU_DEP_3)
	v_fma_f64 v[17:18], v[15:16], v[21:22], v[2:3]
	v_fma_f64 v[2:3], v[15:16], v[21:22], -v[2:3]
	v_fma_f64 v[21:22], v[0:1], 0.5, v[10:11]
	v_fma_f64 v[0:1], v[0:1], 0.5, -v[10:11]
	s_delay_alu instid0(VALU_DEP_4) | instskip(NEXT) | instid1(VALU_DEP_4)
	v_fma_f64 v[17:18], -v[19:20], v[12:13], v[17:18]
	v_fma_f64 v[2:3], -v[19:20], v[12:13], v[2:3]
	global_load_b128 v[10:13], v[23:24], off offset:1088
	v_fma_f64 v[21:22], v[15:16], v[19:20], v[21:22]
	v_fma_f64 v[0:1], -v[15:16], v[19:20], v[0:1]
	ds_store_2addr_b64 v106, v[21:22], v[17:18] offset0:68 offset1:69
	ds_store_b128 v14, v[0:3] offset:2176
	ds_load_b128 v[0:3], v106 offset:816
	ds_load_b128 v[15:18], v14 offset:1904
	s_wait_dscnt 0x0
	v_add_f64_e64 v[19:20], v[0:1], -v[15:16]
	v_add_f64_e32 v[21:22], v[2:3], v[17:18]
	v_add_f64_e64 v[2:3], v[2:3], -v[17:18]
	v_add_f64_e32 v[0:1], v[0:1], v[15:16]
	s_delay_alu instid0(VALU_DEP_4) | instskip(NEXT) | instid1(VALU_DEP_4)
	v_mul_f64_e32 v[17:18], 0.5, v[19:20]
	v_mul_f64_e32 v[19:20], 0.5, v[21:22]
	s_delay_alu instid0(VALU_DEP_4) | instskip(SKIP_1) | instid1(VALU_DEP_3)
	v_mul_f64_e32 v[2:3], 0.5, v[2:3]
	s_wait_loadcnt 0x1
	v_mul_f64_e32 v[15:16], v[17:18], v[8:9]
	s_delay_alu instid0(VALU_DEP_2) | instskip(SKIP_1) | instid1(VALU_DEP_3)
	v_fma_f64 v[21:22], v[19:20], v[8:9], v[2:3]
	v_fma_f64 v[2:3], v[19:20], v[8:9], -v[2:3]
	v_fma_f64 v[8:9], v[0:1], 0.5, v[15:16]
	v_fma_f64 v[0:1], v[0:1], 0.5, -v[15:16]
	s_delay_alu instid0(VALU_DEP_4) | instskip(NEXT) | instid1(VALU_DEP_4)
	v_fma_f64 v[15:16], -v[6:7], v[17:18], v[21:22]
	v_fma_f64 v[2:3], -v[6:7], v[17:18], v[2:3]
	s_delay_alu instid0(VALU_DEP_4) | instskip(NEXT) | instid1(VALU_DEP_4)
	v_fma_f64 v[8:9], v[19:20], v[6:7], v[8:9]
	v_fma_f64 v[0:1], -v[19:20], v[6:7], v[0:1]
	ds_store_2addr_b64 v106, v[8:9], v[15:16] offset0:102 offset1:103
	ds_store_b128 v14, v[0:3] offset:1904
	ds_load_b128 v[0:3], v106 offset:1088
	ds_load_b128 v[6:9], v14 offset:1632
	s_wait_dscnt 0x0
	v_add_f64_e64 v[15:16], v[0:1], -v[6:7]
	v_add_f64_e32 v[17:18], v[2:3], v[8:9]
	v_add_f64_e64 v[2:3], v[2:3], -v[8:9]
	v_add_f64_e32 v[0:1], v[0:1], v[6:7]
	s_delay_alu instid0(VALU_DEP_4) | instskip(NEXT) | instid1(VALU_DEP_4)
	v_mul_f64_e32 v[8:9], 0.5, v[15:16]
	v_mul_f64_e32 v[15:16], 0.5, v[17:18]
	s_delay_alu instid0(VALU_DEP_4) | instskip(SKIP_1) | instid1(VALU_DEP_3)
	v_mul_f64_e32 v[2:3], 0.5, v[2:3]
	s_wait_loadcnt 0x0
	v_mul_f64_e32 v[6:7], v[8:9], v[12:13]
	s_delay_alu instid0(VALU_DEP_2) | instskip(SKIP_1) | instid1(VALU_DEP_3)
	v_fma_f64 v[17:18], v[15:16], v[12:13], v[2:3]
	v_fma_f64 v[2:3], v[15:16], v[12:13], -v[2:3]
	v_fma_f64 v[12:13], v[0:1], 0.5, v[6:7]
	v_fma_f64 v[0:1], v[0:1], 0.5, -v[6:7]
	s_delay_alu instid0(VALU_DEP_4) | instskip(NEXT) | instid1(VALU_DEP_4)
	v_fma_f64 v[6:7], -v[10:11], v[8:9], v[17:18]
	v_fma_f64 v[2:3], -v[10:11], v[8:9], v[2:3]
	s_delay_alu instid0(VALU_DEP_4) | instskip(NEXT) | instid1(VALU_DEP_4)
	v_fma_f64 v[8:9], v[15:16], v[10:11], v[12:13]
	v_fma_f64 v[0:1], -v[15:16], v[10:11], v[0:1]
	ds_store_2addr_b64 v106, v[8:9], v[6:7] offset0:136 offset1:137
	ds_store_b128 v14, v[0:3] offset:1632
	global_wb scope:SCOPE_SE
	s_wait_dscnt 0x0
	s_barrier_signal -1
	s_barrier_wait -1
	global_inv scope:SCOPE_SE
	s_and_saveexec_b32 s0, vcc_lo
	s_cbranch_execz .LBB0_19
; %bb.17:
	ds_load_b128 v[6:9], v106
	ds_load_b128 v[10:13], v106 offset:272
	ds_load_b128 v[14:17], v106 offset:544
	;; [unrolled: 1-line block ×9, first 2 shown]
	v_add_co_u32 v0, vcc_lo, s8, v70
	s_wait_alu 0xfffd
	v_add_co_ci_u32_e32 v1, vcc_lo, s9, v71, vcc_lo
	s_delay_alu instid0(VALU_DEP_2) | instskip(SKIP_1) | instid1(VALU_DEP_2)
	v_add_co_u32 v2, vcc_lo, v0, v4
	s_wait_alu 0xfffd
	v_add_co_ci_u32_e32 v3, vcc_lo, v1, v5, vcc_lo
	v_cmp_eq_u32_e32 vcc_lo, 16, v68
	s_wait_dscnt 0x9
	global_store_b128 v[2:3], v[6:9], off
	s_wait_dscnt 0x8
	global_store_b128 v[2:3], v[10:13], off offset:272
	s_wait_dscnt 0x7
	global_store_b128 v[2:3], v[14:17], off offset:544
	;; [unrolled: 2-line block ×9, first 2 shown]
	s_and_b32 exec_lo, exec_lo, vcc_lo
	s_cbranch_execz .LBB0_19
; %bb.18:
	ds_load_b128 v[2:5], v106 offset:2464
	s_wait_dscnt 0x0
	global_store_b128 v[0:1], v[2:5], off offset:2720
.LBB0_19:
	s_nop 0
	s_sendmsg sendmsg(MSG_DEALLOC_VGPRS)
	s_endpgm
	.section	.rodata,"a",@progbits
	.p2align	6, 0x0
	.amdhsa_kernel fft_rtc_back_len170_factors_17_10_wgs_119_tpt_17_halfLds_dp_ip_CI_unitstride_sbrr_R2C_dirReg
		.amdhsa_group_segment_fixed_size 0
		.amdhsa_private_segment_fixed_size 0
		.amdhsa_kernarg_size 88
		.amdhsa_user_sgpr_count 2
		.amdhsa_user_sgpr_dispatch_ptr 0
		.amdhsa_user_sgpr_queue_ptr 0
		.amdhsa_user_sgpr_kernarg_segment_ptr 1
		.amdhsa_user_sgpr_dispatch_id 0
		.amdhsa_user_sgpr_private_segment_size 0
		.amdhsa_wavefront_size32 1
		.amdhsa_uses_dynamic_stack 0
		.amdhsa_enable_private_segment 0
		.amdhsa_system_sgpr_workgroup_id_x 1
		.amdhsa_system_sgpr_workgroup_id_y 0
		.amdhsa_system_sgpr_workgroup_id_z 0
		.amdhsa_system_sgpr_workgroup_info 0
		.amdhsa_system_vgpr_workitem_id 0
		.amdhsa_next_free_vgpr 256
		.amdhsa_next_free_sgpr 54
		.amdhsa_reserve_vcc 1
		.amdhsa_float_round_mode_32 0
		.amdhsa_float_round_mode_16_64 0
		.amdhsa_float_denorm_mode_32 3
		.amdhsa_float_denorm_mode_16_64 3
		.amdhsa_fp16_overflow 0
		.amdhsa_workgroup_processor_mode 1
		.amdhsa_memory_ordered 1
		.amdhsa_forward_progress 0
		.amdhsa_round_robin_scheduling 0
		.amdhsa_exception_fp_ieee_invalid_op 0
		.amdhsa_exception_fp_denorm_src 0
		.amdhsa_exception_fp_ieee_div_zero 0
		.amdhsa_exception_fp_ieee_overflow 0
		.amdhsa_exception_fp_ieee_underflow 0
		.amdhsa_exception_fp_ieee_inexact 0
		.amdhsa_exception_int_div_zero 0
	.end_amdhsa_kernel
	.text
.Lfunc_end0:
	.size	fft_rtc_back_len170_factors_17_10_wgs_119_tpt_17_halfLds_dp_ip_CI_unitstride_sbrr_R2C_dirReg, .Lfunc_end0-fft_rtc_back_len170_factors_17_10_wgs_119_tpt_17_halfLds_dp_ip_CI_unitstride_sbrr_R2C_dirReg
                                        ; -- End function
	.section	.AMDGPU.csdata,"",@progbits
; Kernel info:
; codeLenInByte = 9536
; NumSgprs: 56
; NumVgprs: 256
; ScratchSize: 0
; MemoryBound: 0
; FloatMode: 240
; IeeeMode: 1
; LDSByteSize: 0 bytes/workgroup (compile time only)
; SGPRBlocks: 6
; VGPRBlocks: 31
; NumSGPRsForWavesPerEU: 56
; NumVGPRsForWavesPerEU: 256
; Occupancy: 5
; WaveLimiterHint : 1
; COMPUTE_PGM_RSRC2:SCRATCH_EN: 0
; COMPUTE_PGM_RSRC2:USER_SGPR: 2
; COMPUTE_PGM_RSRC2:TRAP_HANDLER: 0
; COMPUTE_PGM_RSRC2:TGID_X_EN: 1
; COMPUTE_PGM_RSRC2:TGID_Y_EN: 0
; COMPUTE_PGM_RSRC2:TGID_Z_EN: 0
; COMPUTE_PGM_RSRC2:TIDIG_COMP_CNT: 0
	.text
	.p2alignl 7, 3214868480
	.fill 96, 4, 3214868480
	.type	__hip_cuid_9885b3374fda89ee,@object ; @__hip_cuid_9885b3374fda89ee
	.section	.bss,"aw",@nobits
	.globl	__hip_cuid_9885b3374fda89ee
__hip_cuid_9885b3374fda89ee:
	.byte	0                               ; 0x0
	.size	__hip_cuid_9885b3374fda89ee, 1

	.ident	"AMD clang version 19.0.0git (https://github.com/RadeonOpenCompute/llvm-project roc-6.4.0 25133 c7fe45cf4b819c5991fe208aaa96edf142730f1d)"
	.section	".note.GNU-stack","",@progbits
	.addrsig
	.addrsig_sym __hip_cuid_9885b3374fda89ee
	.amdgpu_metadata
---
amdhsa.kernels:
  - .args:
      - .actual_access:  read_only
        .address_space:  global
        .offset:         0
        .size:           8
        .value_kind:     global_buffer
      - .offset:         8
        .size:           8
        .value_kind:     by_value
      - .actual_access:  read_only
        .address_space:  global
        .offset:         16
        .size:           8
        .value_kind:     global_buffer
      - .actual_access:  read_only
        .address_space:  global
        .offset:         24
        .size:           8
        .value_kind:     global_buffer
      - .offset:         32
        .size:           8
        .value_kind:     by_value
      - .actual_access:  read_only
        .address_space:  global
        .offset:         40
        .size:           8
        .value_kind:     global_buffer
      - .actual_access:  read_only
        .address_space:  global
        .offset:         48
        .size:           8
        .value_kind:     global_buffer
      - .offset:         56
        .size:           4
        .value_kind:     by_value
      - .actual_access:  read_only
        .address_space:  global
        .offset:         64
        .size:           8
        .value_kind:     global_buffer
      - .actual_access:  read_only
        .address_space:  global
        .offset:         72
        .size:           8
        .value_kind:     global_buffer
      - .address_space:  global
        .offset:         80
        .size:           8
        .value_kind:     global_buffer
    .group_segment_fixed_size: 0
    .kernarg_segment_align: 8
    .kernarg_segment_size: 88
    .language:       OpenCL C
    .language_version:
      - 2
      - 0
    .max_flat_workgroup_size: 119
    .name:           fft_rtc_back_len170_factors_17_10_wgs_119_tpt_17_halfLds_dp_ip_CI_unitstride_sbrr_R2C_dirReg
    .private_segment_fixed_size: 0
    .sgpr_count:     56
    .sgpr_spill_count: 0
    .symbol:         fft_rtc_back_len170_factors_17_10_wgs_119_tpt_17_halfLds_dp_ip_CI_unitstride_sbrr_R2C_dirReg.kd
    .uniform_work_group_size: 1
    .uses_dynamic_stack: false
    .vgpr_count:     256
    .vgpr_spill_count: 0
    .wavefront_size: 32
    .workgroup_processor_mode: 1
amdhsa.target:   amdgcn-amd-amdhsa--gfx1201
amdhsa.version:
  - 1
  - 2
...

	.end_amdgpu_metadata
